;; amdgpu-corpus repo=ROCm/rocFFT kind=compiled arch=gfx1201 opt=O3
	.text
	.amdgcn_target "amdgcn-amd-amdhsa--gfx1201"
	.amdhsa_code_object_version 6
	.protected	fft_rtc_fwd_len338_factors_13_2_13_wgs_52_tpt_26_halfLds_dp_ip_CI_unitstride_sbrr_R2C_dirReg ; -- Begin function fft_rtc_fwd_len338_factors_13_2_13_wgs_52_tpt_26_halfLds_dp_ip_CI_unitstride_sbrr_R2C_dirReg
	.globl	fft_rtc_fwd_len338_factors_13_2_13_wgs_52_tpt_26_halfLds_dp_ip_CI_unitstride_sbrr_R2C_dirReg
	.p2align	8
	.type	fft_rtc_fwd_len338_factors_13_2_13_wgs_52_tpt_26_halfLds_dp_ip_CI_unitstride_sbrr_R2C_dirReg,@function
fft_rtc_fwd_len338_factors_13_2_13_wgs_52_tpt_26_halfLds_dp_ip_CI_unitstride_sbrr_R2C_dirReg: ; @fft_rtc_fwd_len338_factors_13_2_13_wgs_52_tpt_26_halfLds_dp_ip_CI_unitstride_sbrr_R2C_dirReg
; %bb.0:
	s_clause 0x2
	s_load_b128 s[4:7], s[0:1], 0x0
	s_load_b64 s[8:9], s[0:1], 0x50
	s_load_b64 s[10:11], s[0:1], 0x18
	v_mul_u32_u24_e32 v1, 0x9d9, v0
	v_mov_b32_e32 v3, 0
	s_delay_alu instid0(VALU_DEP_2) | instskip(SKIP_2) | instid1(VALU_DEP_4)
	v_lshrrev_b32_e32 v9, 16, v1
	v_mov_b32_e32 v1, 0
	v_mov_b32_e32 v2, 0
	;; [unrolled: 1-line block ×3, first 2 shown]
	s_delay_alu instid0(VALU_DEP_4) | instskip(SKIP_2) | instid1(VALU_DEP_1)
	v_lshl_add_u32 v5, ttmp9, 1, v9
	s_wait_kmcnt 0x0
	v_cmp_lt_u64_e64 s2, s[6:7], 2
	s_and_b32 vcc_lo, exec_lo, s2
	s_cbranch_vccnz .LBB0_8
; %bb.1:
	s_load_b64 s[2:3], s[0:1], 0x10
	v_mov_b32_e32 v1, 0
	v_mov_b32_e32 v2, 0
	s_add_nc_u64 s[12:13], s[10:11], 8
	s_mov_b64 s[14:15], 1
	s_wait_kmcnt 0x0
	s_add_nc_u64 s[16:17], s[2:3], 8
	s_mov_b32 s3, 0
.LBB0_2:                                ; =>This Inner Loop Header: Depth=1
	s_load_b64 s[18:19], s[16:17], 0x0
                                        ; implicit-def: $vgpr7_vgpr8
	s_mov_b32 s2, exec_lo
	s_wait_kmcnt 0x0
	v_or_b32_e32 v4, s19, v6
	s_delay_alu instid0(VALU_DEP_1)
	v_cmpx_ne_u64_e32 0, v[3:4]
	s_wait_alu 0xfffe
	s_xor_b32 s20, exec_lo, s2
	s_cbranch_execz .LBB0_4
; %bb.3:                                ;   in Loop: Header=BB0_2 Depth=1
	s_cvt_f32_u32 s2, s18
	s_cvt_f32_u32 s21, s19
	s_sub_nc_u64 s[24:25], 0, s[18:19]
	s_wait_alu 0xfffe
	s_delay_alu instid0(SALU_CYCLE_1) | instskip(SKIP_1) | instid1(SALU_CYCLE_2)
	s_fmamk_f32 s2, s21, 0x4f800000, s2
	s_wait_alu 0xfffe
	v_s_rcp_f32 s2, s2
	s_delay_alu instid0(TRANS32_DEP_1) | instskip(SKIP_1) | instid1(SALU_CYCLE_2)
	s_mul_f32 s2, s2, 0x5f7ffffc
	s_wait_alu 0xfffe
	s_mul_f32 s21, s2, 0x2f800000
	s_wait_alu 0xfffe
	s_delay_alu instid0(SALU_CYCLE_2) | instskip(SKIP_1) | instid1(SALU_CYCLE_2)
	s_trunc_f32 s21, s21
	s_wait_alu 0xfffe
	s_fmamk_f32 s2, s21, 0xcf800000, s2
	s_cvt_u32_f32 s23, s21
	s_wait_alu 0xfffe
	s_delay_alu instid0(SALU_CYCLE_1) | instskip(SKIP_1) | instid1(SALU_CYCLE_2)
	s_cvt_u32_f32 s22, s2
	s_wait_alu 0xfffe
	s_mul_u64 s[26:27], s[24:25], s[22:23]
	s_wait_alu 0xfffe
	s_mul_hi_u32 s29, s22, s27
	s_mul_i32 s28, s22, s27
	s_mul_hi_u32 s2, s22, s26
	s_mul_i32 s30, s23, s26
	s_wait_alu 0xfffe
	s_add_nc_u64 s[28:29], s[2:3], s[28:29]
	s_mul_hi_u32 s21, s23, s26
	s_mul_hi_u32 s31, s23, s27
	s_add_co_u32 s2, s28, s30
	s_wait_alu 0xfffe
	s_add_co_ci_u32 s2, s29, s21
	s_mul_i32 s26, s23, s27
	s_add_co_ci_u32 s27, s31, 0
	s_wait_alu 0xfffe
	s_add_nc_u64 s[26:27], s[2:3], s[26:27]
	s_wait_alu 0xfffe
	v_add_co_u32 v4, s2, s22, s26
	s_delay_alu instid0(VALU_DEP_1) | instskip(SKIP_1) | instid1(VALU_DEP_1)
	s_cmp_lg_u32 s2, 0
	s_add_co_ci_u32 s23, s23, s27
	v_readfirstlane_b32 s22, v4
	s_wait_alu 0xfffe
	s_delay_alu instid0(VALU_DEP_1)
	s_mul_u64 s[24:25], s[24:25], s[22:23]
	s_wait_alu 0xfffe
	s_mul_hi_u32 s27, s22, s25
	s_mul_i32 s26, s22, s25
	s_mul_hi_u32 s2, s22, s24
	s_mul_i32 s28, s23, s24
	s_wait_alu 0xfffe
	s_add_nc_u64 s[26:27], s[2:3], s[26:27]
	s_mul_hi_u32 s21, s23, s24
	s_mul_hi_u32 s22, s23, s25
	s_wait_alu 0xfffe
	s_add_co_u32 s2, s26, s28
	s_add_co_ci_u32 s2, s27, s21
	s_mul_i32 s24, s23, s25
	s_add_co_ci_u32 s25, s22, 0
	s_wait_alu 0xfffe
	s_add_nc_u64 s[24:25], s[2:3], s[24:25]
	s_wait_alu 0xfffe
	v_add_co_u32 v4, s2, v4, s24
	s_delay_alu instid0(VALU_DEP_1) | instskip(SKIP_1) | instid1(VALU_DEP_1)
	s_cmp_lg_u32 s2, 0
	s_add_co_ci_u32 s2, s23, s25
	v_mul_hi_u32 v14, v5, v4
	s_wait_alu 0xfffe
	v_mad_co_u64_u32 v[7:8], null, v5, s2, 0
	v_mad_co_u64_u32 v[10:11], null, v6, v4, 0
	;; [unrolled: 1-line block ×3, first 2 shown]
	s_delay_alu instid0(VALU_DEP_3) | instskip(SKIP_1) | instid1(VALU_DEP_4)
	v_add_co_u32 v4, vcc_lo, v14, v7
	s_wait_alu 0xfffd
	v_add_co_ci_u32_e32 v7, vcc_lo, 0, v8, vcc_lo
	s_delay_alu instid0(VALU_DEP_2) | instskip(SKIP_1) | instid1(VALU_DEP_2)
	v_add_co_u32 v4, vcc_lo, v4, v10
	s_wait_alu 0xfffd
	v_add_co_ci_u32_e32 v4, vcc_lo, v7, v11, vcc_lo
	s_wait_alu 0xfffd
	v_add_co_ci_u32_e32 v7, vcc_lo, 0, v13, vcc_lo
	s_delay_alu instid0(VALU_DEP_2) | instskip(SKIP_1) | instid1(VALU_DEP_2)
	v_add_co_u32 v4, vcc_lo, v4, v12
	s_wait_alu 0xfffd
	v_add_co_ci_u32_e32 v10, vcc_lo, 0, v7, vcc_lo
	s_delay_alu instid0(VALU_DEP_2) | instskip(SKIP_1) | instid1(VALU_DEP_3)
	v_mul_lo_u32 v11, s19, v4
	v_mad_co_u64_u32 v[7:8], null, s18, v4, 0
	v_mul_lo_u32 v12, s18, v10
	s_delay_alu instid0(VALU_DEP_2) | instskip(NEXT) | instid1(VALU_DEP_2)
	v_sub_co_u32 v7, vcc_lo, v5, v7
	v_add3_u32 v8, v8, v12, v11
	s_delay_alu instid0(VALU_DEP_1) | instskip(SKIP_1) | instid1(VALU_DEP_1)
	v_sub_nc_u32_e32 v11, v6, v8
	s_wait_alu 0xfffd
	v_subrev_co_ci_u32_e64 v11, s2, s19, v11, vcc_lo
	v_add_co_u32 v12, s2, v4, 2
	s_wait_alu 0xf1ff
	v_add_co_ci_u32_e64 v13, s2, 0, v10, s2
	v_sub_co_u32 v14, s2, v7, s18
	v_sub_co_ci_u32_e32 v8, vcc_lo, v6, v8, vcc_lo
	s_wait_alu 0xf1ff
	v_subrev_co_ci_u32_e64 v11, s2, 0, v11, s2
	s_delay_alu instid0(VALU_DEP_3) | instskip(NEXT) | instid1(VALU_DEP_3)
	v_cmp_le_u32_e32 vcc_lo, s18, v14
	v_cmp_eq_u32_e64 s2, s19, v8
	s_wait_alu 0xfffd
	v_cndmask_b32_e64 v14, 0, -1, vcc_lo
	v_cmp_le_u32_e32 vcc_lo, s19, v11
	s_wait_alu 0xfffd
	v_cndmask_b32_e64 v15, 0, -1, vcc_lo
	v_cmp_le_u32_e32 vcc_lo, s18, v7
	;; [unrolled: 3-line block ×3, first 2 shown]
	s_wait_alu 0xfffd
	v_cndmask_b32_e64 v16, 0, -1, vcc_lo
	v_cmp_eq_u32_e32 vcc_lo, s19, v11
	s_wait_alu 0xf1ff
	s_delay_alu instid0(VALU_DEP_2)
	v_cndmask_b32_e64 v7, v16, v7, s2
	s_wait_alu 0xfffd
	v_cndmask_b32_e32 v11, v15, v14, vcc_lo
	v_add_co_u32 v14, vcc_lo, v4, 1
	s_wait_alu 0xfffd
	v_add_co_ci_u32_e32 v15, vcc_lo, 0, v10, vcc_lo
	s_delay_alu instid0(VALU_DEP_3) | instskip(SKIP_1) | instid1(VALU_DEP_2)
	v_cmp_ne_u32_e32 vcc_lo, 0, v11
	s_wait_alu 0xfffd
	v_dual_cndmask_b32 v8, v15, v13 :: v_dual_cndmask_b32 v11, v14, v12
	v_cmp_ne_u32_e32 vcc_lo, 0, v7
	s_wait_alu 0xfffd
	s_delay_alu instid0(VALU_DEP_2)
	v_dual_cndmask_b32 v8, v10, v8 :: v_dual_cndmask_b32 v7, v4, v11
.LBB0_4:                                ;   in Loop: Header=BB0_2 Depth=1
	s_wait_alu 0xfffe
	s_and_not1_saveexec_b32 s2, s20
	s_cbranch_execz .LBB0_6
; %bb.5:                                ;   in Loop: Header=BB0_2 Depth=1
	v_cvt_f32_u32_e32 v4, s18
	s_sub_co_i32 s20, 0, s18
	s_delay_alu instid0(VALU_DEP_1) | instskip(NEXT) | instid1(TRANS32_DEP_1)
	v_rcp_iflag_f32_e32 v4, v4
	v_mul_f32_e32 v4, 0x4f7ffffe, v4
	s_delay_alu instid0(VALU_DEP_1) | instskip(SKIP_1) | instid1(VALU_DEP_1)
	v_cvt_u32_f32_e32 v4, v4
	s_wait_alu 0xfffe
	v_mul_lo_u32 v7, s20, v4
	s_delay_alu instid0(VALU_DEP_1) | instskip(NEXT) | instid1(VALU_DEP_1)
	v_mul_hi_u32 v7, v4, v7
	v_add_nc_u32_e32 v4, v4, v7
	s_delay_alu instid0(VALU_DEP_1) | instskip(NEXT) | instid1(VALU_DEP_1)
	v_mul_hi_u32 v4, v5, v4
	v_mul_lo_u32 v7, v4, s18
	v_add_nc_u32_e32 v8, 1, v4
	s_delay_alu instid0(VALU_DEP_2) | instskip(NEXT) | instid1(VALU_DEP_1)
	v_sub_nc_u32_e32 v7, v5, v7
	v_subrev_nc_u32_e32 v10, s18, v7
	v_cmp_le_u32_e32 vcc_lo, s18, v7
	s_wait_alu 0xfffd
	s_delay_alu instid0(VALU_DEP_2) | instskip(NEXT) | instid1(VALU_DEP_1)
	v_dual_cndmask_b32 v7, v7, v10 :: v_dual_cndmask_b32 v4, v4, v8
	v_cmp_le_u32_e32 vcc_lo, s18, v7
	s_delay_alu instid0(VALU_DEP_2) | instskip(SKIP_1) | instid1(VALU_DEP_1)
	v_add_nc_u32_e32 v8, 1, v4
	s_wait_alu 0xfffd
	v_dual_cndmask_b32 v7, v4, v8 :: v_dual_mov_b32 v8, v3
.LBB0_6:                                ;   in Loop: Header=BB0_2 Depth=1
	s_wait_alu 0xfffe
	s_or_b32 exec_lo, exec_lo, s2
	s_load_b64 s[20:21], s[12:13], 0x0
	s_delay_alu instid0(VALU_DEP_1)
	v_mul_lo_u32 v4, v8, s18
	v_mul_lo_u32 v12, v7, s19
	v_mad_co_u64_u32 v[10:11], null, v7, s18, 0
	s_add_nc_u64 s[14:15], s[14:15], 1
	s_add_nc_u64 s[12:13], s[12:13], 8
	s_wait_alu 0xfffe
	v_cmp_ge_u64_e64 s2, s[14:15], s[6:7]
	s_add_nc_u64 s[16:17], s[16:17], 8
	s_delay_alu instid0(VALU_DEP_2) | instskip(NEXT) | instid1(VALU_DEP_3)
	v_add3_u32 v4, v11, v12, v4
	v_sub_co_u32 v5, vcc_lo, v5, v10
	s_wait_alu 0xfffd
	s_delay_alu instid0(VALU_DEP_2) | instskip(SKIP_3) | instid1(VALU_DEP_2)
	v_sub_co_ci_u32_e32 v4, vcc_lo, v6, v4, vcc_lo
	s_and_b32 vcc_lo, exec_lo, s2
	s_wait_kmcnt 0x0
	v_mul_lo_u32 v6, s21, v5
	v_mul_lo_u32 v4, s20, v4
	v_mad_co_u64_u32 v[1:2], null, s20, v5, v[1:2]
	s_delay_alu instid0(VALU_DEP_1)
	v_add3_u32 v2, v6, v2, v4
	s_wait_alu 0xfffe
	s_cbranch_vccnz .LBB0_9
; %bb.7:                                ;   in Loop: Header=BB0_2 Depth=1
	v_dual_mov_b32 v5, v7 :: v_dual_mov_b32 v6, v8
	s_branch .LBB0_2
.LBB0_8:
	v_dual_mov_b32 v8, v6 :: v_dual_mov_b32 v7, v5
.LBB0_9:
	s_lshl_b64 s[2:3], s[6:7], 3
	v_mul_hi_u32 v3, 0x9d89d8a, v0
	s_wait_alu 0xfffe
	s_add_nc_u64 s[2:3], s[10:11], s[2:3]
	s_load_b64 s[6:7], s[0:1], 0x20
	s_load_b64 s[2:3], s[2:3], 0x0
	v_and_b32_e32 v4, 1, v9
	s_delay_alu instid0(VALU_DEP_2) | instskip(NEXT) | instid1(VALU_DEP_2)
	v_mul_u32_u24_e32 v3, 26, v3
	v_cmp_eq_u32_e64 s0, 1, v4
	s_delay_alu instid0(VALU_DEP_2) | instskip(NEXT) | instid1(VALU_DEP_1)
	v_sub_nc_u32_e32 v56, v0, v3
	v_add_nc_u32_e32 v61, 26, v56
	v_add_nc_u32_e32 v66, 52, v56
	;; [unrolled: 1-line block ×4, first 2 shown]
	s_wait_kmcnt 0x0
	v_cmp_gt_u64_e32 vcc_lo, s[6:7], v[7:8]
	v_mul_lo_u32 v3, s2, v8
	v_mul_lo_u32 v4, s3, v7
	v_mad_co_u64_u32 v[0:1], null, s2, v7, v[1:2]
	v_cmp_le_u64_e64 s1, s[6:7], v[7:8]
	v_add_nc_u32_e32 v63, 0x82, v56
	v_add_nc_u32_e32 v60, 0x9c, v56
	s_delay_alu instid0(VALU_DEP_4) | instskip(NEXT) | instid1(VALU_DEP_4)
	v_add3_u32 v1, v4, v1, v3
	s_and_saveexec_b32 s2, s1
	s_wait_alu 0xfffe
	s_xor_b32 s1, exec_lo, s2
; %bb.10:
	v_add_nc_u32_e32 v61, 26, v56
	v_add_nc_u32_e32 v66, 52, v56
	;; [unrolled: 1-line block ×6, first 2 shown]
; %bb.11:
	s_wait_alu 0xfffe
	s_or_saveexec_b32 s1, s1
	v_cndmask_b32_e64 v2, 0, 0x153, s0
	v_lshlrev_b64_e32 v[58:59], 4, v[0:1]
	v_lshlrev_b32_e32 v62, 4, v56
	s_delay_alu instid0(VALU_DEP_3)
	v_lshlrev_b32_e32 v67, 4, v2
	s_wait_alu 0xfffe
	s_xor_b32 exec_lo, exec_lo, s1
	s_cbranch_execz .LBB0_13
; %bb.12:
	v_mov_b32_e32 v57, 0
	v_add_co_u32 v2, s0, s8, v58
	s_wait_alu 0xf1ff
	v_add_co_ci_u32_e64 v3, s0, s9, v59, s0
	s_delay_alu instid0(VALU_DEP_3) | instskip(SKIP_1) | instid1(VALU_DEP_2)
	v_lshlrev_b64_e32 v[0:1], 4, v[56:57]
	v_add3_u32 v52, 0, v67, v62
	v_add_co_u32 v48, s0, v2, v0
	s_wait_alu 0xf1ff
	s_delay_alu instid0(VALU_DEP_3)
	v_add_co_ci_u32_e64 v49, s0, v3, v1, s0
	s_clause 0xc
	global_load_b128 v[0:3], v[48:49], off
	global_load_b128 v[4:7], v[48:49], off offset:416
	global_load_b128 v[8:11], v[48:49], off offset:832
	;; [unrolled: 1-line block ×12, first 2 shown]
	s_wait_loadcnt 0xc
	ds_store_b128 v52, v[0:3]
	s_wait_loadcnt 0xb
	ds_store_b128 v52, v[4:7] offset:416
	s_wait_loadcnt 0xa
	ds_store_b128 v52, v[8:11] offset:832
	s_wait_loadcnt 0x9
	ds_store_b128 v52, v[12:15] offset:1248
	s_wait_loadcnt 0x8
	ds_store_b128 v52, v[16:19] offset:1664
	s_wait_loadcnt 0x7
	ds_store_b128 v52, v[20:23] offset:2080
	s_wait_loadcnt 0x6
	ds_store_b128 v52, v[24:27] offset:2496
	s_wait_loadcnt 0x5
	ds_store_b128 v52, v[28:31] offset:2912
	s_wait_loadcnt 0x4
	ds_store_b128 v52, v[32:35] offset:3328
	s_wait_loadcnt 0x3
	ds_store_b128 v52, v[36:39] offset:3744
	s_wait_loadcnt 0x2
	ds_store_b128 v52, v[40:43] offset:4160
	s_wait_loadcnt 0x1
	ds_store_b128 v52, v[44:47] offset:4576
	s_wait_loadcnt 0x0
	ds_store_b128 v52, v[48:51] offset:4992
.LBB0_13:
	s_or_b32 exec_lo, exec_lo, s1
	v_add_nc_u32_e32 v130, 0, v67
	v_add3_u32 v57, 0, v62, v67
	global_wb scope:SCOPE_SE
	s_wait_dscnt 0x0
	s_barrier_signal -1
	s_barrier_wait -1
	v_add_nc_u32_e32 v129, v130, v62
	global_inv scope:SCOPE_SE
	s_mov_b32 s10, 0x42a4c3d2
	s_mov_b32 s11, 0xbfea55e2
	;; [unrolled: 1-line block ×3, first 2 shown]
	ds_load_b128 v[4:7], v129
	ds_load_b128 v[12:15], v57 offset:416
	ds_load_b128 v[24:27], v57 offset:832
	;; [unrolled: 1-line block ×3, first 2 shown]
	s_mov_b32 s2, 0x2ef20147
	s_mov_b32 s6, 0x24c2f84
	;; [unrolled: 1-line block ×18, first 2 shown]
	s_wait_dscnt 0x2
	v_add_f64_e32 v[0:1], v[4:5], v[12:13]
	v_add_f64_e32 v[2:3], v[6:7], v[14:15]
	s_mov_b32 s29, 0x3fefc445
	s_wait_alu 0xfffe
	s_mov_b32 s30, s6
	s_mov_b32 s28, s12
	;; [unrolled: 1-line block ×12, first 2 shown]
	s_wait_dscnt 0x1
	s_delay_alu instid0(VALU_DEP_2) | instskip(NEXT) | instid1(VALU_DEP_2)
	v_add_f64_e32 v[28:29], v[0:1], v[24:25]
	v_add_f64_e32 v[30:31], v[2:3], v[26:27]
	ds_load_b128 v[8:11], v57 offset:4160
	ds_load_b128 v[0:3], v57 offset:4576
	;; [unrolled: 1-line block ×8, first 2 shown]
	s_wait_dscnt 0x7
	v_add_f64_e64 v[82:83], v[20:21], -v[8:9]
	s_wait_dscnt 0x3
	v_add_f64_e64 v[40:41], v[48:49], -v[18:19]
	v_add_f64_e32 v[100:101], v[48:49], v[18:19]
	s_wait_dscnt 0x2
	v_add_f64_e64 v[38:39], v[50:51], -v[32:33]
	v_add_f64_e32 v[44:45], v[50:51], v[32:33]
	v_add_f64_e64 v[78:79], v[24:25], -v[0:1]
	v_add_f64_e64 v[80:81], v[26:27], -v[2:3]
	;; [unrolled: 1-line block ×3, first 2 shown]
	v_add_f64_e32 v[90:91], v[24:25], v[0:1]
	v_add_f64_e32 v[92:93], v[26:27], v[2:3]
	;; [unrolled: 1-line block ×4, first 2 shown]
	v_add_f64_e64 v[36:37], v[46:47], -v[16:17]
	s_wait_dscnt 0x0
	v_add_f64_e64 v[86:87], v[70:71], -v[74:75]
	v_add_f64_e64 v[88:89], v[68:69], -v[72:73]
	;; [unrolled: 1-line block ×3, first 2 shown]
	v_add_f64_e32 v[98:99], v[46:47], v[16:17]
	v_add_f64_e32 v[54:55], v[28:29], v[20:21]
	;; [unrolled: 1-line block ×3, first 2 shown]
	ds_load_b128 v[28:31], v57 offset:4992
	v_add_f64_e32 v[20:21], v[70:71], v[74:75]
	v_add_f64_e32 v[22:23], v[68:69], v[72:73]
	;; [unrolled: 1-line block ×3, first 2 shown]
	global_wb scope:SCOPE_SE
	s_wait_dscnt 0x0
	s_barrier_signal -1
	s_barrier_wait -1
	global_inv scope:SCOPE_SE
	v_mul_f64_e32 v[157:158], s[10:11], v[82:83]
	v_add_f64_e64 v[104:105], v[12:13], -v[28:29]
	v_add_f64_e32 v[102:103], v[12:13], v[28:29]
	v_add_f64_e32 v[106:107], v[14:15], v[30:31]
	v_mul_f64_e32 v[165:166], s[6:7], v[82:83]
	v_mul_f64_e32 v[110:111], s[2:3], v[78:79]
	v_mul_f64_e32 v[108:109], s[2:3], v[80:81]
	v_mul_f64_e32 v[124:125], s[26:27], v[80:81]
	v_mul_f64_e32 v[126:127], s[26:27], v[78:79]
	v_mul_f64_e32 v[139:140], s[30:31], v[80:81]
	v_mul_f64_e32 v[151:152], s[28:29], v[80:81]
	v_mul_f64_e32 v[153:154], s[28:29], v[78:79]
	v_mul_f64_e32 v[141:142], s[30:31], v[78:79]
	v_mul_f64_e32 v[155:156], s[10:11], v[84:85]
	v_mul_f64_e32 v[163:164], s[6:7], v[84:85]
	v_mul_f64_e32 v[179:180], s[10:11], v[80:81]
	v_mul_f64_e32 v[181:182], s[10:11], v[78:79]
	v_add_f64_e32 v[54:55], v[54:55], v[46:47]
	v_add_f64_e32 v[48:49], v[76:77], v[48:49]
	v_add_f64_e64 v[76:77], v[14:15], -v[30:31]
	v_mul_f64_e32 v[112:113], s[26:27], v[84:85]
	v_mul_f64_e32 v[114:115], s[26:27], v[82:83]
	;; [unrolled: 1-line block ×18, first 2 shown]
	v_fma_f64 v[223:224], v[96:97], s[16:17], v[157:158]
	v_mul_f64_e32 v[183:184], s[10:11], v[104:105]
	v_mul_f64_e32 v[191:192], s[12:13], v[104:105]
	;; [unrolled: 1-line block ×6, first 2 shown]
	v_fma_f64 v[201:202], v[90:91], s[24:25], -v[108:109]
	v_fma_f64 v[203:204], v[92:93], s[24:25], v[110:111]
	s_wait_alu 0xfffe
	v_fma_f64 v[209:210], v[90:91], s[20:21], -v[124:125]
	v_fma_f64 v[211:212], v[92:93], s[20:21], v[126:127]
	v_fma_f64 v[217:218], v[90:91], s[22:23], -v[151:152]
	v_fma_f64 v[219:220], v[92:93], s[22:23], v[153:154]
	v_fma_f64 v[215:216], v[92:93], s[18:19], v[141:142]
	v_fma_f64 v[221:222], v[94:95], s[16:17], -v[155:156]
	v_fma_f64 v[151:152], v[90:91], s[22:23], v[151:152]
	v_fma_f64 v[108:109], v[90:91], s[24:25], v[108:109]
	v_add_f64_e32 v[50:51], v[54:55], v[50:51]
	v_add_f64_e32 v[48:49], v[48:49], v[52:53]
	v_mul_f64_e32 v[177:178], s[10:11], v[76:77]
	v_mul_f64_e32 v[185:186], s[12:13], v[76:77]
	;; [unrolled: 1-line block ×6, first 2 shown]
	s_mov_b32 s1, 0x3fddbe06
	v_fma_f64 v[124:125], v[90:91], s[20:21], v[124:125]
	s_wait_alu 0xfffe
	v_mul_f64_e32 v[80:81], s[0:1], v[80:81]
	v_mul_f64_e32 v[78:79], s[0:1], v[78:79]
	;; [unrolled: 1-line block ×4, first 2 shown]
	v_fma_f64 v[110:111], v[92:93], s[24:25], -v[110:111]
	v_fma_f64 v[141:142], v[92:93], s[18:19], -v[141:142]
	;; [unrolled: 1-line block ×4, first 2 shown]
	v_fma_f64 v[207:208], v[96:97], s[20:21], v[114:115]
	v_mul_f64_e32 v[52:53], s[38:39], v[36:37]
	v_fma_f64 v[213:214], v[94:95], s[24:25], -v[131:132]
	v_fma_f64 v[112:113], v[94:95], s[20:21], v[112:113]
	v_fma_f64 v[231:232], v[106:107], s[16:17], v[183:184]
	;; [unrolled: 1-line block ×5, first 2 shown]
	v_fma_f64 v[199:200], v[106:107], s[18:19], -v[199:200]
	v_fma_f64 v[227:228], v[106:107], s[14:15], v[175:176]
	v_fma_f64 v[175:176], v[106:107], s[14:15], -v[175:176]
	v_fma_f64 v[183:184], v[106:107], s[16:17], -v[183:184]
	;; [unrolled: 1-line block ×4, first 2 shown]
	v_fma_f64 v[131:132], v[94:95], s[24:25], v[131:132]
	v_fma_f64 v[114:115], v[96:97], s[20:21], -v[114:115]
	v_mul_f64_e32 v[149:150], s[38:39], v[38:39]
	v_mul_f64_e32 v[173:174], s[2:3], v[42:43]
	;; [unrolled: 1-line block ×4, first 2 shown]
	v_add_f64_e32 v[50:51], v[50:51], v[68:69]
	v_add_f64_e32 v[48:49], v[48:49], v[70:71]
	v_fma_f64 v[229:230], v[102:103], s[16:17], -v[177:178]
	v_fma_f64 v[233:234], v[102:103], s[22:23], -v[185:186]
	;; [unrolled: 1-line block ×5, first 2 shown]
	v_fma_f64 v[171:172], v[102:103], s[14:15], v[171:172]
	v_fma_f64 v[177:178], v[102:103], s[16:17], v[177:178]
	;; [unrolled: 1-line block ×5, first 2 shown]
	v_fma_f64 v[245:246], v[102:103], s[20:21], -v[76:77]
	v_fma_f64 v[76:77], v[102:103], s[20:21], v[76:77]
	v_fma_f64 v[102:103], v[106:107], s[20:21], v[104:105]
	v_fma_f64 v[104:105], v[106:107], s[20:21], -v[104:105]
	v_fma_f64 v[70:71], v[90:91], s[18:19], -v[139:140]
	v_fma_f64 v[106:107], v[92:93], s[22:23], -v[153:154]
	v_fma_f64 v[153:154], v[94:95], s[16:17], v[155:156]
	v_fma_f64 v[155:156], v[96:97], s[16:17], -v[157:158]
	v_fma_f64 v[157:158], v[94:95], s[18:19], -v[163:164]
	v_fma_f64 v[139:140], v[90:91], s[18:19], v[139:140]
	v_add_f64_e32 v[231:232], v[6:7], v[231:232]
	v_add_f64_e32 v[235:236], v[6:7], v[235:236]
	;; [unrolled: 1-line block ×10, first 2 shown]
	v_fma_f64 v[68:69], v[96:97], s[24:25], v[133:134]
	v_fma_f64 v[133:134], v[96:97], s[24:25], -v[133:134]
	v_mul_f64_e32 v[46:47], s[34:35], v[86:87]
	v_mul_f64_e32 v[26:27], s[34:35], v[88:89]
	;; [unrolled: 1-line block ×4, first 2 shown]
	v_add_f64_e32 v[50:51], v[50:51], v[72:73]
	v_add_f64_e32 v[48:49], v[48:49], v[74:75]
	;; [unrolled: 1-line block ×6, first 2 shown]
	v_fma_f64 v[72:73], v[96:97], s[18:19], v[165:166]
	v_fma_f64 v[74:75], v[94:95], s[18:19], v[163:164]
	v_fma_f64 v[163:164], v[96:97], s[18:19], -v[165:166]
	v_fma_f64 v[165:166], v[90:91], s[16:17], -v[179:180]
	v_fma_f64 v[179:180], v[90:91], s[16:17], v[179:180]
	v_add_f64_e32 v[225:226], v[4:5], v[225:226]
	v_add_f64_e32 v[245:246], v[4:5], v[245:246]
	;; [unrolled: 1-line block ×10, first 2 shown]
	v_fma_f64 v[104:105], v[92:93], s[16:17], -v[181:182]
	v_fma_f64 v[76:77], v[92:93], s[16:17], v[181:182]
	v_add_f64_e32 v[203:204], v[203:204], v[231:232]
	v_add_f64_e32 v[211:212], v[211:212], v[235:236]
	v_mul_f64_e32 v[235:236], s[2:3], v[40:41]
	v_add_f64_e32 v[219:220], v[219:220], v[243:244]
	v_mul_f64_e32 v[40:41], s[0:1], v[40:41]
	v_fma_f64 v[181:182], v[94:95], s[22:23], -v[187:188]
	v_fma_f64 v[187:188], v[94:95], s[22:23], v[187:188]
	v_add_f64_e32 v[215:216], v[215:216], v[239:240]
	v_add_f64_e32 v[106:107], v[106:107], v[199:200]
	;; [unrolled: 1-line block ×5, first 2 shown]
	v_fma_f64 v[199:200], v[100:101], s[18:19], v[118:119]
	v_mul_f64_e32 v[239:240], s[6:7], v[38:39]
	v_fma_f64 v[197:198], v[100:101], s[20:21], v[52:53]
	v_add_f64_e32 v[32:33], v[50:51], v[32:33]
	v_fma_f64 v[50:51], v[90:91], s[14:15], -v[80:81]
	v_fma_f64 v[80:81], v[90:91], s[14:15], v[80:81]
	v_fma_f64 v[90:91], v[92:93], s[14:15], v[78:79]
	v_fma_f64 v[78:79], v[92:93], s[14:15], -v[78:79]
	v_add_f64_e32 v[201:202], v[201:202], v[229:230]
	v_add_f64_e32 v[209:210], v[209:210], v[233:234]
	v_add_f64_e32 v[70:71], v[70:71], v[237:238]
	v_mul_f64_e32 v[237:238], s[2:3], v[36:37]
	v_add_f64_e32 v[217:218], v[217:218], v[241:242]
	v_mul_f64_e32 v[36:37], s[0:1], v[36:37]
	v_fma_f64 v[92:93], v[94:95], s[14:15], -v[84:85]
	v_fma_f64 v[84:85], v[94:95], s[14:15], v[84:85]
	v_fma_f64 v[94:95], v[96:97], s[14:15], v[82:83]
	v_add_f64_e32 v[34:35], v[48:49], v[34:35]
	v_fma_f64 v[48:49], v[96:97], s[22:23], v[189:190]
	v_fma_f64 v[189:190], v[96:97], s[22:23], -v[189:190]
	v_fma_f64 v[82:83], v[96:97], s[14:15], -v[82:83]
	v_add_f64_e32 v[151:152], v[151:152], v[195:196]
	v_add_f64_e32 v[139:140], v[139:140], v[193:194]
	;; [unrolled: 1-line block ×8, first 2 shown]
	v_fma_f64 v[195:196], v[98:99], s[18:19], -v[116:117]
	v_add_f64_e32 v[203:204], v[207:208], v[203:204]
	v_add_f64_e32 v[68:69], v[68:69], v[211:212]
	v_add_f64_e32 v[219:220], v[223:224], v[219:220]
	v_fma_f64 v[179:180], v[98:99], s[22:23], -v[143:144]
	v_fma_f64 v[175:176], v[100:101], s[22:23], v[145:146]
	v_mul_f64_e32 v[96:97], s[2:3], v[38:39]
	v_mul_f64_e32 v[233:234], s[6:7], v[42:43]
	;; [unrolled: 1-line block ×4, first 2 shown]
	v_fma_f64 v[193:194], v[98:99], s[20:21], -v[159:160]
	v_fma_f64 v[52:53], v[100:101], s[20:21], -v[52:53]
	v_fma_f64 v[211:212], v[100:101], s[16:17], v[169:170]
	v_add_f64_e32 v[50:51], v[50:51], v[245:246]
	v_add_f64_e32 v[4:5], v[80:81], v[4:5]
	;; [unrolled: 1-line block ×6, first 2 shown]
	v_fma_f64 v[213:214], v[98:99], s[16:17], -v[167:168]
	v_add_f64_e32 v[106:107], v[155:156], v[106:107]
	v_add_f64_e32 v[217:218], v[221:222], v[217:218]
	v_fma_f64 v[221:222], v[98:99], s[14:15], -v[40:41]
	v_fma_f64 v[223:224], v[100:101], s[14:15], v[36:37]
	v_add_f64_e32 v[70:71], v[92:93], v[70:71]
	v_add_f64_e32 v[94:95], v[94:95], v[215:216]
	;; [unrolled: 1-line block ×4, first 2 shown]
	v_fma_f64 v[167:168], v[98:99], s[16:17], v[167:168]
	v_fma_f64 v[169:170], v[100:101], s[16:17], -v[169:170]
	v_fma_f64 v[159:160], v[98:99], s[20:21], v[159:160]
	v_add_f64_e32 v[151:152], v[153:154], v[151:152]
	v_fma_f64 v[32:33], v[98:99], s[18:19], v[116:117]
	v_fma_f64 v[34:35], v[98:99], s[22:23], v[143:144]
	v_fma_f64 v[116:117], v[100:101], s[18:19], -v[118:119]
	v_fma_f64 v[118:119], v[100:101], s[22:23], -v[145:146]
	v_add_f64_e32 v[104:105], v[189:190], v[104:105]
	v_add_f64_e32 v[110:111], v[114:115], v[110:111]
	;; [unrolled: 1-line block ×4, first 2 shown]
	v_fma_f64 v[40:41], v[98:99], s[14:15], v[40:41]
	v_fma_f64 v[36:37], v[100:101], s[14:15], -v[36:37]
	v_add_f64_e32 v[108:109], v[112:113], v[108:109]
	v_add_f64_e32 v[112:113], v[131:132], v[124:125]
	;; [unrolled: 1-line block ×3, first 2 shown]
	v_fma_f64 v[153:154], v[98:99], s[24:25], -v[235:236]
	v_fma_f64 v[235:236], v[98:99], s[24:25], v[235:236]
	v_add_f64_e32 v[98:99], v[181:182], v[165:166]
	v_add_f64_e32 v[48:49], v[48:49], v[76:77]
	v_mul_f64_e32 v[229:230], s[28:29], v[86:87]
	v_mul_f64_e32 v[231:232], s[28:29], v[88:89]
	v_add_f64_e32 v[50:51], v[157:158], v[50:51]
	v_add_f64_e32 v[4:5], v[74:75], v[4:5]
	;; [unrolled: 1-line block ×4, first 2 shown]
	v_fma_f64 v[90:91], v[100:101], s[24:25], -v[237:238]
	v_fma_f64 v[74:75], v[100:101], s[24:25], v[237:238]
	v_add_f64_e32 v[100:101], v[187:188], v[171:172]
	v_mul_f64_e32 v[241:242], s[26:27], v[86:87]
	v_mul_f64_e32 v[243:244], s[26:27], v[88:89]
	;; [unrolled: 1-line block ×4, first 2 shown]
	v_fma_f64 v[245:246], v[44:45], s[22:23], -v[120:121]
	v_fma_f64 v[102:103], v[24:25], s[22:23], v[122:123]
	v_add_f64_e32 v[76:77], v[195:196], v[201:202]
	v_add_f64_e32 v[126:127], v[199:200], v[203:204]
	v_fma_f64 v[80:81], v[44:45], s[16:17], -v[135:136]
	v_fma_f64 v[78:79], v[24:25], s[16:17], v[137:138]
	v_add_f64_e32 v[131:132], v[221:222], v[209:210]
	v_add_f64_e32 v[68:69], v[223:224], v[68:69]
	;; [unrolled: 4-line block ×4, first 2 shown]
	v_fma_f64 v[92:93], v[44:45], s[24:25], -v[173:174]
	v_fma_f64 v[215:216], v[24:25], s[24:25], v[96:97]
	v_fma_f64 v[38:39], v[24:25], s[14:15], -v[38:39]
	v_add_f64_e32 v[52:53], v[52:53], v[106:107]
	v_add_f64_e32 v[8:9], v[16:17], v[8:9]
	;; [unrolled: 1-line block ×3, first 2 shown]
	v_fma_f64 v[173:174], v[44:45], s[24:25], v[173:174]
	v_fma_f64 v[96:97], v[24:25], s[24:25], -v[96:97]
	v_fma_f64 v[42:43], v[44:45], s[14:15], v[42:43]
	v_add_f64_e32 v[141:142], v[159:160], v[151:152]
	v_fma_f64 v[16:17], v[44:45], s[18:19], -v[233:234]
	v_add_f64_e32 v[50:51], v[213:214], v[50:51]
	v_add_f64_e32 v[4:5], v[167:168], v[4:5]
	;; [unrolled: 1-line block ×4, first 2 shown]
	v_fma_f64 v[18:19], v[44:45], s[18:19], v[233:234]
	v_fma_f64 v[106:107], v[44:45], s[22:23], v[120:121]
	;; [unrolled: 1-line block ×4, first 2 shown]
	v_fma_f64 v[122:123], v[24:25], s[22:23], -v[122:123]
	v_fma_f64 v[145:146], v[24:25], s[20:21], -v[149:150]
	v_add_f64_e32 v[90:91], v[90:91], v[104:105]
	v_add_f64_e32 v[104:105], v[116:117], v[110:111]
	;; [unrolled: 1-line block ×4, first 2 shown]
	v_fma_f64 v[137:138], v[24:25], s[16:17], -v[137:138]
	v_add_f64_e32 v[40:41], v[40:41], v[112:113]
	v_add_f64_e32 v[36:37], v[36:37], v[114:115]
	;; [unrolled: 1-line block ×3, first 2 shown]
	v_fma_f64 v[135:136], v[24:25], s[18:19], -v[239:240]
	v_add_f64_e32 v[100:101], v[235:236], v[100:101]
	v_add_f64_e32 v[98:99], v[153:154], v[98:99]
	v_fma_f64 v[24:25], v[24:25], s[18:19], v[239:240]
	v_add_f64_e32 v[48:49], v[74:75], v[48:49]
	v_fma_f64 v[84:85], v[22:23], s[14:15], -v[86:87]
	v_fma_f64 v[108:109], v[20:21], s[14:15], v[88:89]
	v_add_f64_e32 v[74:75], v[245:246], v[76:77]
	v_add_f64_e32 v[76:77], v[102:103], v[126:127]
	v_fma_f64 v[225:226], v[22:23], s[18:19], -v[14:15]
	v_fma_f64 v[227:228], v[20:21], s[18:19], v[12:13]
	v_add_f64_e32 v[80:81], v[80:81], v[131:132]
	;; [unrolled: 4-line block ×4, first 2 shown]
	v_add_f64_e32 v[102:103], v[124:125], v[139:140]
	v_add_f64_e32 v[38:39], v[38:39], v[52:53]
	v_add_f64_e32 v[50:51], v[92:93], v[50:51]
	v_add_f64_e32 v[52:53], v[215:216], v[72:73]
	v_add_f64_e32 v[0:1], v[8:9], v[0:1]
	v_add_f64_e32 v[2:3], v[10:11], v[2:3]
	v_fma_f64 v[72:73], v[22:23], s[22:23], -v[229:230]
	v_fma_f64 v[92:93], v[20:21], s[22:23], v[231:232]
	v_add_f64_e32 v[110:111], v[173:174], v[4:5]
	v_add_f64_e32 v[96:97], v[96:97], v[6:7]
	v_fma_f64 v[112:113], v[22:23], s[22:23], v[229:230]
	v_fma_f64 v[114:115], v[20:21], s[22:23], -v[231:232]
	v_fma_f64 v[54:55], v[22:23], s[24:25], v[54:55]
	v_fma_f64 v[161:162], v[20:21], s[24:25], -v[161:162]
	v_add_f64_e32 v[42:43], v[42:43], v[141:142]
	v_fma_f64 v[46:47], v[22:23], s[16:17], v[46:47]
	v_add_f64_e32 v[104:105], v[122:123], v[104:105]
	v_add_f64_e32 v[44:45], v[44:45], v[34:35]
	;; [unrolled: 1-line block ×3, first 2 shown]
	v_fma_f64 v[122:123], v[20:21], s[16:17], -v[26:27]
	v_fma_f64 v[124:125], v[22:23], s[18:19], v[14:15]
	v_add_f64_e32 v[40:41], v[120:121], v[40:41]
	v_add_f64_e32 v[120:121], v[137:138], v[36:37]
	v_fma_f64 v[126:127], v[20:21], s[18:19], -v[12:13]
	v_fma_f64 v[86:87], v[22:23], s[14:15], v[86:87]
	v_add_f64_e32 v[106:107], v[106:107], v[32:33]
	v_fma_f64 v[88:89], v[20:21], s[14:15], -v[88:89]
	v_fma_f64 v[118:119], v[22:23], s[20:21], v[241:242]
	v_add_f64_e32 v[100:101], v[18:19], v[100:101]
	v_add_f64_e32 v[90:91], v[135:136], v[90:91]
	v_fma_f64 v[131:132], v[20:21], s[20:21], -v[243:244]
	v_fma_f64 v[116:117], v[22:23], s[20:21], -v[241:242]
	v_add_f64_e32 v[98:99], v[16:17], v[98:99]
	v_fma_f64 v[133:134], v[20:21], s[20:21], v[243:244]
	v_add_f64_e32 v[135:136], v[24:25], v[48:49]
	v_add_f64_e32 v[4:5], v[84:85], v[74:75]
	;; [unrolled: 1-line block ×13, first 2 shown]
	v_mad_u32_u24 v52, 0xc0, v56, v57
	v_add_f64_e32 v[32:33], v[112:113], v[110:111]
	v_add_f64_e32 v[34:35], v[114:115], v[96:97]
	v_cmp_gt_u32_e64 s0, 13, v56
	v_add_f64_e32 v[22:23], v[161:162], v[38:39]
	v_add_f64_e32 v[20:21], v[54:55], v[42:43]
	v_lshlrev_b32_e32 v68, 4, v60
	v_add_f64_e32 v[44:45], v[46:47], v[44:45]
	v_add_f64_e32 v[46:47], v[122:123], v[82:83]
	;; [unrolled: 1-line block ×8, first 2 shown]
	v_lshl_add_u32 v132, v64, 4, v130
	v_add_f64_e32 v[48:49], v[116:117], v[98:99]
	v_lshl_add_u32 v131, v63, 4, v130
	v_add_f64_e32 v[50:51], v[133:134], v[135:136]
	v_lshl_add_u32 v134, v66, 4, v130
	v_lshl_add_u32 v133, v65, 4, v130
	ds_store_b128 v52, v[4:7] offset:32
	ds_store_b128 v52, v[8:11] offset:48
	;; [unrolled: 1-line block ×11, first 2 shown]
	ds_store_b128 v52, v[24:27]
	ds_store_b128 v52, v[48:51] offset:16
	global_wb scope:SCOPE_SE
	s_wait_dscnt 0x0
	s_barrier_signal -1
	s_barrier_wait -1
	global_inv scope:SCOPE_SE
	ds_load_b128 v[8:11], v129
	ds_load_b128 v[32:35], v57 offset:2704
	v_lshl_add_u32 v135, v61, 4, v130
	ds_load_b128 v[40:43], v57 offset:3120
	ds_load_b128 v[36:39], v57 offset:3536
	ds_load_b128 v[20:23], v134
	ds_load_b128 v[12:15], v133
	ds_load_b128 v[48:51], v57 offset:3952
	ds_load_b128 v[44:47], v57 offset:4368
	ds_load_b128 v[24:27], v132
	ds_load_b128 v[16:19], v131
	;; [unrolled: 1-line block ×3, first 2 shown]
	ds_load_b128 v[52:55], v57 offset:4784
                                        ; implicit-def: $vgpr6_vgpr7
	s_and_saveexec_b32 s1, s0
	s_cbranch_execz .LBB0_15
; %bb.14:
	v_add3_u32 v0, 0, v68, v67
	ds_load_b128 v[0:3], v0
	ds_load_b128 v[4:7], v57 offset:5200
.LBB0_15:
	s_wait_alu 0xfffe
	s_or_b32 exec_lo, exec_lo, s1
	v_and_b32_e32 v70, 0xff, v61
	v_and_b32_e32 v71, 0xff, v66
	;; [unrolled: 1-line block ×5, first 2 shown]
	v_mul_lo_u16 v74, 0x4f, v70
	v_mul_lo_u16 v71, 0x4f, v71
	v_dual_mov_b32 v94, 0 :: v_dual_add_nc_u32 v69, -13, v56
	v_mul_lo_u16 v72, 0x4f, v72
	s_delay_alu instid0(VALU_DEP_4) | instskip(NEXT) | instid1(VALU_DEP_4)
	v_lshrrev_b16 v106, 10, v74
	v_lshrrev_b16 v107, 10, v71
	v_mul_lo_u16 v71, 0x4f, v73
	v_mul_lo_u16 v73, 0x4f, v75
	v_cndmask_b32_e64 v93, v69, v56, s0
	v_mul_lo_u16 v74, v106, 13
	v_lshrrev_b16 v108, 10, v72
	v_mul_lo_u16 v72, v107, 13
	v_lshrrev_b16 v109, 10, v71
	v_lshrrev_b16 v110, 10, v73
	v_lshlrev_b64_e32 v[69:70], 4, v[93:94]
	v_sub_nc_u16 v71, v61, v74
	v_mul_lo_u16 v73, v108, 13
	v_sub_nc_u16 v72, v66, v72
	v_mul_lo_u16 v74, v109, 13
	v_mul_lo_u16 v75, v110, 13
	v_and_b32_e32 v71, 0xff, v71
	v_sub_nc_u16 v73, v65, v73
	v_add_co_u32 v69, s1, s4, v69
	v_and_b32_e32 v72, 0xff, v72
	v_sub_nc_u16 v74, v64, v74
	s_wait_alu 0xf1ff
	v_add_co_ci_u32_e64 v70, s1, s5, v70, s1
	v_sub_nc_u16 v75, v63, v75
	v_lshlrev_b32_e32 v111, 4, v71
	v_and_b32_e32 v73, 0xff, v73
	v_lshlrev_b32_e32 v112, 4, v72
	v_and_b32_e32 v77, 0xff, v74
	v_and_b32_e32 v81, 0xff, v75
	global_load_b128 v[69:72], v[69:70], off
	v_lshlrev_b32_e32 v113, 4, v73
	global_load_b128 v[73:76], v111, s[4:5]
	v_lshlrev_b32_e32 v114, 4, v77
	global_load_b128 v[77:80], v112, s[4:5]
	v_lshlrev_b32_e32 v115, 4, v81
	s_clause 0x2
	global_load_b128 v[81:84], v113, s[4:5]
	global_load_b128 v[85:88], v114, s[4:5]
	;; [unrolled: 1-line block ×3, first 2 shown]
	v_cmp_lt_u32_e64 s1, 12, v56
	global_wb scope:SCOPE_SE
	s_wait_loadcnt_dscnt 0x0
	s_barrier_signal -1
	s_barrier_wait -1
	global_inv scope:SCOPE_SE
	v_mul_f64_e32 v[94:95], v[34:35], v[71:72]
	v_mul_f64_e32 v[71:72], v[32:33], v[71:72]
	;; [unrolled: 1-line block ×12, first 2 shown]
	v_fma_f64 v[32:33], v[32:33], v[69:70], -v[94:95]
	v_fma_f64 v[34:35], v[34:35], v[69:70], v[71:72]
	v_fma_f64 v[40:41], v[40:41], v[73:74], -v[96:97]
	v_fma_f64 v[42:43], v[42:43], v[73:74], v[75:76]
	;; [unrolled: 2-line block ×6, first 2 shown]
	v_add_f64_e64 v[32:33], v[8:9], -v[32:33]
	v_add_f64_e64 v[34:35], v[10:11], -v[34:35]
	;; [unrolled: 1-line block ×12, first 2 shown]
	s_wait_alu 0xf1ff
	v_cndmask_b32_e64 v69, 0, 0x1a0, s1
	v_lshlrev_b32_e32 v70, 4, v93
	v_and_b32_e32 v71, 0xffff, v107
	v_and_b32_e32 v72, 0xffff, v108
	;; [unrolled: 1-line block ×3, first 2 shown]
	v_add_nc_u32_e32 v69, 0, v69
	v_and_b32_e32 v74, 0xffff, v110
	v_mad_u32_u24 v71, 0x1a0, v71, 0
	v_mad_u32_u24 v72, 0x1a0, v72, 0
	;; [unrolled: 1-line block ×3, first 2 shown]
	v_add3_u32 v69, v69, v70, v67
	v_and_b32_e32 v70, 0xffff, v106
	v_mad_u32_u24 v74, 0x1a0, v74, 0
	v_add3_u32 v71, v71, v112, v67
	v_add3_u32 v72, v72, v113, v67
	;; [unrolled: 1-line block ×3, first 2 shown]
	v_mad_u32_u24 v70, 0x1a0, v70, 0
	v_add3_u32 v74, v74, v115, v67
	s_delay_alu instid0(VALU_DEP_2)
	v_add3_u32 v70, v70, v111, v67
	v_fma_f64 v[8:9], v[8:9], 2.0, -v[32:33]
	v_fma_f64 v[10:11], v[10:11], 2.0, -v[34:35]
	;; [unrolled: 1-line block ×12, first 2 shown]
	ds_store_b128 v69, v[8:11]
	ds_store_b128 v69, v[32:35] offset:208
	ds_store_b128 v70, v[28:31]
	ds_store_b128 v70, v[36:39] offset:208
	;; [unrolled: 2-line block ×6, first 2 shown]
	s_and_saveexec_b32 s1, s0
	s_cbranch_execz .LBB0_17
; %bb.16:
	v_and_b32_e32 v8, 0xff, v60
	s_delay_alu instid0(VALU_DEP_1) | instskip(NEXT) | instid1(VALU_DEP_1)
	v_mul_lo_u16 v8, 0x4f, v8
	v_lshrrev_b16 v8, 10, v8
	s_delay_alu instid0(VALU_DEP_1) | instskip(NEXT) | instid1(VALU_DEP_1)
	v_mul_lo_u16 v8, v8, 13
	v_sub_nc_u16 v8, v60, v8
	s_delay_alu instid0(VALU_DEP_1) | instskip(NEXT) | instid1(VALU_DEP_1)
	v_and_b32_e32 v8, 0xff, v8
	v_lshlrev_b32_e32 v14, 4, v8
	global_load_b128 v[8:11], v14, s[4:5]
	s_wait_loadcnt 0x0
	v_mul_f64_e32 v[12:13], v[4:5], v[10:11]
	v_mul_f64_e32 v[10:11], v[6:7], v[10:11]
	s_delay_alu instid0(VALU_DEP_2) | instskip(NEXT) | instid1(VALU_DEP_2)
	v_fma_f64 v[6:7], v[6:7], v[8:9], v[12:13]
	v_fma_f64 v[4:5], v[4:5], v[8:9], -v[10:11]
	v_add3_u32 v8, 0, v14, v67
	s_delay_alu instid0(VALU_DEP_3) | instskip(NEXT) | instid1(VALU_DEP_3)
	v_add_f64_e64 v[6:7], v[2:3], -v[6:7]
	v_add_f64_e64 v[4:5], v[0:1], -v[4:5]
	s_delay_alu instid0(VALU_DEP_2) | instskip(NEXT) | instid1(VALU_DEP_2)
	v_fma_f64 v[2:3], v[2:3], 2.0, -v[6:7]
	v_fma_f64 v[0:1], v[0:1], 2.0, -v[4:5]
	ds_store_b128 v8, v[0:3] offset:4992
	ds_store_b128 v8, v[4:7] offset:5200
.LBB0_17:
	s_wait_alu 0xfffe
	s_or_b32 exec_lo, exec_lo, s1
	v_mul_u32_u24_e32 v0, 12, v56
	global_wb scope:SCOPE_SE
	s_wait_dscnt 0x0
	s_barrier_signal -1
	s_barrier_wait -1
	global_inv scope:SCOPE_SE
	v_lshlrev_b32_e32 v32, 4, v0
	s_mov_b32 s24, 0x42a4c3d2
	s_mov_b32 s26, 0x66966769
	;; [unrolled: 1-line block ×4, first 2 shown]
	s_clause 0x3
	global_load_b128 v[0:3], v32, s[4:5] offset:208
	global_load_b128 v[4:7], v32, s[4:5] offset:384
	global_load_b128 v[8:11], v32, s[4:5] offset:224
	global_load_b128 v[12:15], v32, s[4:5] offset:368
	ds_load_b128 v[16:19], v135
	ds_load_b128 v[20:23], v57 offset:4992
	s_mov_b32 s28, 0x4bc48dbf
	s_mov_b32 s21, 0xbfddbe06
	;; [unrolled: 1-line block ×21, first 2 shown]
	s_wait_alu 0xfffe
	s_mov_b32 s34, s22
	s_mov_b32 s31, 0x3fefc445
	;; [unrolled: 1-line block ×4, first 2 shown]
	s_wait_loadcnt_dscnt 0x301
	v_mul_f64_e32 v[24:25], v[18:19], v[2:3]
	v_mul_f64_e32 v[2:3], v[16:17], v[2:3]
	s_wait_loadcnt_dscnt 0x200
	v_mul_f64_e32 v[26:27], v[20:21], v[6:7]
	s_delay_alu instid0(VALU_DEP_3) | instskip(NEXT) | instid1(VALU_DEP_3)
	v_fma_f64 v[54:55], v[16:17], v[0:1], -v[24:25]
	v_fma_f64 v[71:72], v[18:19], v[0:1], v[2:3]
	v_mul_f64_e32 v[2:3], v[22:23], v[6:7]
	ds_load_b128 v[16:19], v134
	v_fma_f64 v[0:1], v[22:23], v[4:5], v[26:27]
	v_fma_f64 v[2:3], v[20:21], v[4:5], -v[2:3]
	ds_load_b128 v[20:23], v133
	s_wait_loadcnt_dscnt 0x101
	v_mul_f64_e32 v[4:5], v[18:19], v[10:11]
	v_mul_f64_e32 v[10:11], v[16:17], v[10:11]
	v_add_f64_e32 v[75:76], v[54:55], v[2:3]
	s_delay_alu instid0(VALU_DEP_3) | instskip(NEXT) | instid1(VALU_DEP_3)
	v_fma_f64 v[6:7], v[16:17], v[8:9], -v[4:5]
	v_fma_f64 v[8:9], v[18:19], v[8:9], v[10:11]
	ds_load_b128 v[16:19], v57 offset:4576
	ds_load_b128 v[24:27], v57 offset:4160
	s_wait_loadcnt_dscnt 0x1
	v_mul_f64_e32 v[10:11], v[18:19], v[14:15]
	v_mul_f64_e32 v[4:5], v[16:17], v[14:15]
	s_delay_alu instid0(VALU_DEP_2)
	v_fma_f64 v[10:11], v[16:17], v[12:13], -v[10:11]
	s_clause 0x1
	global_load_b128 v[14:17], v32, s[4:5] offset:240
	global_load_b128 v[28:31], v32, s[4:5] offset:256
	v_fma_f64 v[4:5], v[18:19], v[12:13], v[4:5]
	s_wait_loadcnt 0x1
	v_mul_f64_e32 v[12:13], v[22:23], v[16:17]
	v_mul_f64_e32 v[16:17], v[20:21], v[16:17]
	s_delay_alu instid0(VALU_DEP_2)
	v_fma_f64 v[12:13], v[20:21], v[14:15], -v[12:13]
	s_clause 0x1
	global_load_b128 v[18:21], v32, s[4:5] offset:352
	global_load_b128 v[42:45], v32, s[4:5] offset:336
	v_fma_f64 v[14:15], v[22:23], v[14:15], v[16:17]
	s_wait_loadcnt_dscnt 0x100
	v_mul_f64_e32 v[16:17], v[24:25], v[20:21]
	v_mul_f64_e32 v[20:21], v[26:27], v[20:21]
	s_delay_alu instid0(VALU_DEP_2) | instskip(NEXT) | instid1(VALU_DEP_2)
	v_fma_f64 v[16:17], v[26:27], v[18:19], v[16:17]
	v_fma_f64 v[18:19], v[24:25], v[18:19], -v[20:21]
	ds_load_b128 v[22:25], v132
	ds_load_b128 v[33:36], v131
	s_wait_dscnt 0x1
	v_mul_f64_e32 v[20:21], v[24:25], v[30:31]
	v_add_f64_e64 v[144:145], v[12:13], -v[18:19]
	s_delay_alu instid0(VALU_DEP_2) | instskip(SKIP_1) | instid1(VALU_DEP_3)
	v_fma_f64 v[20:21], v[22:23], v[28:29], -v[20:21]
	v_mul_f64_e32 v[22:23], v[22:23], v[30:31]
	v_mul_f64_e32 v[184:185], s[28:29], v[144:145]
	s_delay_alu instid0(VALU_DEP_2)
	v_fma_f64 v[22:23], v[24:25], v[28:29], v[22:23]
	s_clause 0x1
	global_load_b128 v[26:29], v32, s[4:5] offset:272
	global_load_b128 v[37:40], v32, s[4:5] offset:288
	s_wait_loadcnt_dscnt 0x100
	v_mul_f64_e32 v[24:25], v[35:36], v[28:29]
	v_mul_f64_e32 v[28:29], v[33:34], v[28:29]
	s_delay_alu instid0(VALU_DEP_2) | instskip(NEXT) | instid1(VALU_DEP_2)
	v_fma_f64 v[24:25], v[33:34], v[26:27], -v[24:25]
	v_fma_f64 v[26:27], v[35:36], v[26:27], v[28:29]
	v_add3_u32 v28, 0, v68, v67
	ds_load_b128 v[33:36], v28
	s_wait_loadcnt_dscnt 0x0
	v_mul_f64_e32 v[28:29], v[35:36], v[39:40]
	v_mul_f64_e32 v[30:31], v[33:34], v[39:40]
	s_delay_alu instid0(VALU_DEP_2) | instskip(NEXT) | instid1(VALU_DEP_2)
	v_fma_f64 v[28:29], v[33:34], v[37:38], -v[28:29]
	v_fma_f64 v[30:31], v[35:36], v[37:38], v[30:31]
	s_clause 0x1
	global_load_b128 v[34:37], v32, s[4:5] offset:304
	global_load_b128 v[38:41], v32, s[4:5] offset:320
	ds_load_b128 v[46:49], v57 offset:2912
	ds_load_b128 v[67:70], v129
	s_wait_loadcnt_dscnt 0x101
	v_mul_f64_e32 v[32:33], v[48:49], v[36:37]
	v_mul_f64_e32 v[36:37], v[46:47], v[36:37]
	s_delay_alu instid0(VALU_DEP_2) | instskip(NEXT) | instid1(VALU_DEP_2)
	v_fma_f64 v[32:33], v[46:47], v[34:35], -v[32:33]
	v_fma_f64 v[34:35], v[48:49], v[34:35], v[36:37]
	ds_load_b128 v[46:49], v57 offset:3328
	ds_load_b128 v[50:53], v57 offset:3744
	global_wb scope:SCOPE_SE
	s_wait_loadcnt_dscnt 0x0
	s_barrier_signal -1
	s_barrier_wait -1
	global_inv scope:SCOPE_SE
	v_mul_f64_e32 v[36:37], v[48:49], v[40:41]
	v_mul_f64_e32 v[40:41], v[46:47], v[40:41]
	v_add_f64_e32 v[168:169], v[28:29], v[32:33]
	v_add_f64_e64 v[166:167], v[30:31], -v[34:35]
	v_add_f64_e64 v[172:173], v[28:29], -v[32:33]
	v_add_f64_e32 v[174:175], v[30:31], v[34:35]
	v_fma_f64 v[36:37], v[46:47], v[38:39], -v[36:37]
	v_fma_f64 v[38:39], v[48:49], v[38:39], v[40:41]
	v_mul_f64_e32 v[40:41], v[52:53], v[44:45]
	v_mul_f64_e32 v[44:45], v[50:51], v[44:45]
	;; [unrolled: 1-line block ×8, first 2 shown]
	v_add_f64_e32 v[156:157], v[24:25], v[36:37]
	v_add_f64_e64 v[154:155], v[26:27], -v[38:39]
	v_fma_f64 v[40:41], v[50:51], v[42:43], -v[40:41]
	v_fma_f64 v[42:43], v[52:53], v[42:43], v[44:45]
	v_add_f64_e64 v[44:45], v[71:72], -v[0:1]
	v_add_f64_e64 v[160:161], v[24:25], -v[36:37]
	v_add_f64_e32 v[162:163], v[26:27], v[38:39]
	v_mul_f64_e32 v[158:159], s[22:23], v[154:155]
	v_add_f64_e64 v[148:149], v[20:21], -v[40:41]
	v_add_f64_e64 v[146:147], v[22:23], -v[42:43]
	v_mul_f64_e32 v[46:47], s[20:21], v[44:45]
	v_mul_f64_e32 v[48:49], s[24:25], v[44:45]
	;; [unrolled: 1-line block ×6, first 2 shown]
	v_add_f64_e32 v[150:151], v[22:23], v[42:43]
	v_mul_f64_e32 v[164:165], s[22:23], v[160:161]
	s_wait_alu 0xfffe
	v_mul_f64_e32 v[190:191], s[30:31], v[154:155]
	v_mul_f64_e32 v[192:193], s[30:31], v[160:161]
	;; [unrolled: 1-line block ×4, first 2 shown]
	v_fma_f64 v[77:78], v[75:76], s[16:17], -v[46:47]
	v_fma_f64 v[79:80], v[75:76], s[16:17], v[46:47]
	v_fma_f64 v[81:82], v[75:76], s[12:13], -v[48:49]
	v_fma_f64 v[83:84], v[75:76], s[12:13], v[48:49]
	v_fma_f64 v[85:86], v[75:76], s[14:15], -v[50:51]
	v_fma_f64 v[97:98], v[75:76], s[2:3], -v[44:45]
	v_fma_f64 v[99:100], v[75:76], s[2:3], v[44:45]
	v_add_f64_e64 v[44:45], v[54:55], -v[2:3]
	v_fma_f64 v[87:88], v[75:76], s[14:15], v[50:51]
	v_fma_f64 v[89:90], v[75:76], s[10:11], -v[52:53]
	v_fma_f64 v[91:92], v[75:76], s[10:11], v[52:53]
	v_fma_f64 v[93:94], v[75:76], s[6:7], -v[73:74]
	v_fma_f64 v[95:96], v[75:76], s[6:7], v[73:74]
	v_add_f64_e32 v[75:76], v[71:72], v[0:1]
	v_mul_f64_e32 v[188:189], s[34:35], v[148:149]
	v_add_f64_e32 v[138:139], v[67:68], v[79:80]
	v_add_f64_e32 v[117:118], v[67:68], v[81:82]
	;; [unrolled: 1-line block ×4, first 2 shown]
	v_mul_f64_e32 v[46:47], s[20:21], v[44:45]
	v_mul_f64_e32 v[48:49], s[24:25], v[44:45]
	;; [unrolled: 1-line block ×6, first 2 shown]
	v_add_f64_e32 v[81:82], v[67:68], v[95:96]
	s_mov_b32 s21, 0x3fddbe06
	s_wait_alu 0xfffe
	v_mul_f64_e32 v[194:195], s[20:21], v[166:167]
	v_fma_f64 v[101:102], v[75:76], s[16:17], v[46:47]
	v_fma_f64 v[103:104], v[75:76], s[16:17], -v[46:47]
	v_fma_f64 v[105:106], v[75:76], s[12:13], v[48:49]
	v_fma_f64 v[107:108], v[75:76], s[12:13], -v[48:49]
	;; [unrolled: 2-line block ×6, first 2 shown]
	v_add_f64_e32 v[48:49], v[67:68], v[77:78]
	v_add_f64_e32 v[77:78], v[67:68], v[91:92]
	v_add_f64_e64 v[91:92], v[8:9], -v[4:5]
	v_add_f64_e32 v[44:45], v[67:68], v[54:55]
	v_add_f64_e32 v[46:47], v[69:70], v[71:72]
	;; [unrolled: 1-line block ×20, first 2 shown]
	v_mul_f64_e32 v[69:70], s[24:25], v[91:92]
	v_add_f64_e64 v[125:126], v[6:7], -v[10:11]
	v_add_f64_e64 v[127:128], v[14:15], -v[16:17]
	v_mul_f64_e32 v[178:179], s[18:19], v[91:92]
	v_add_f64_e32 v[6:7], v[44:45], v[6:7]
	v_fma_f64 v[93:94], v[67:68], s[12:13], v[69:70]
	v_mul_f64_e32 v[95:96], s[24:25], v[125:126]
	v_mul_f64_e32 v[99:100], s[26:27], v[127:128]
	;; [unrolled: 1-line block ×4, first 2 shown]
	v_add_f64_e32 v[6:7], v[6:7], v[12:13]
	v_add_f64_e32 v[115:116], v[93:94], v[138:139]
	;; [unrolled: 1-line block ×4, first 2 shown]
	s_delay_alu instid0(VALU_DEP_4) | instskip(NEXT) | instid1(VALU_DEP_3)
	v_add_f64_e32 v[6:7], v[6:7], v[20:21]
	v_fma_f64 v[97:98], v[93:94], s[12:13], -v[95:96]
	s_delay_alu instid0(VALU_DEP_3) | instskip(NEXT) | instid1(VALU_DEP_3)
	v_add_f64_e32 v[8:9], v[8:9], v[14:15]
	v_add_f64_e32 v[6:7], v[6:7], v[24:25]
	s_delay_alu instid0(VALU_DEP_3) | instskip(SKIP_1) | instid1(VALU_DEP_4)
	v_add_f64_e32 v[121:122], v[97:98], v[140:141]
	v_add_f64_e32 v[97:98], v[12:13], v[18:19]
	;; [unrolled: 1-line block ×3, first 2 shown]
	s_delay_alu instid0(VALU_DEP_4) | instskip(NEXT) | instid1(VALU_DEP_3)
	v_add_f64_e32 v[6:7], v[6:7], v[28:29]
	v_fma_f64 v[119:120], v[97:98], s[14:15], v[99:100]
	s_delay_alu instid0(VALU_DEP_3) | instskip(NEXT) | instid1(VALU_DEP_3)
	v_add_f64_e32 v[8:9], v[8:9], v[26:27]
	v_add_f64_e32 v[6:7], v[6:7], v[32:33]
	s_delay_alu instid0(VALU_DEP_3) | instskip(SKIP_4) | instid1(VALU_DEP_3)
	v_add_f64_e32 v[136:137], v[119:120], v[115:116]
	v_add_f64_e32 v[115:116], v[14:15], v[16:17]
	v_mul_f64_e32 v[119:120], s[26:27], v[144:145]
	v_add_f64_e32 v[8:9], v[8:9], v[30:31]
	v_add_f64_e32 v[6:7], v[6:7], v[36:37]
	v_fma_f64 v[123:124], v[115:116], s[14:15], -v[119:120]
	s_delay_alu instid0(VALU_DEP_3) | instskip(NEXT) | instid1(VALU_DEP_3)
	v_add_f64_e32 v[8:9], v[8:9], v[34:35]
	v_add_f64_e32 v[6:7], v[6:7], v[40:41]
	s_delay_alu instid0(VALU_DEP_3) | instskip(SKIP_4) | instid1(VALU_DEP_3)
	v_add_f64_e32 v[138:139], v[123:124], v[121:122]
	v_add_f64_e32 v[121:122], v[20:21], v[40:41]
	v_mul_f64_e32 v[123:124], s[18:19], v[146:147]
	v_add_f64_e32 v[8:9], v[8:9], v[38:39]
	v_add_f64_e32 v[6:7], v[6:7], v[18:19]
	v_fma_f64 v[140:141], v[121:122], s[10:11], v[123:124]
	s_delay_alu instid0(VALU_DEP_3) | instskip(NEXT) | instid1(VALU_DEP_3)
	v_add_f64_e32 v[8:9], v[8:9], v[42:43]
	v_add_f64_e32 v[6:7], v[6:7], v[10:11]
	v_sub_nc_u32_e32 v10, v130, v62
	s_delay_alu instid0(VALU_DEP_4) | instskip(SKIP_3) | instid1(VALU_DEP_3)
	v_add_f64_e32 v[136:137], v[140:141], v[136:137]
	v_fma_f64 v[140:141], v[150:151], s[10:11], -v[152:153]
	v_add_f64_e32 v[8:9], v[8:9], v[16:17]
	v_add_f64_e32 v[2:3], v[6:7], v[2:3]
	v_add_f64_e32 v[138:139], v[140:141], v[138:139]
	v_fma_f64 v[140:141], v[156:157], s[6:7], v[158:159]
	s_delay_alu instid0(VALU_DEP_4) | instskip(NEXT) | instid1(VALU_DEP_2)
	v_add_f64_e32 v[4:5], v[8:9], v[4:5]
                                        ; implicit-def: $vgpr8_vgpr9
	v_add_f64_e32 v[136:137], v[140:141], v[136:137]
	v_fma_f64 v[140:141], v[162:163], s[6:7], -v[164:165]
	s_delay_alu instid0(VALU_DEP_3) | instskip(NEXT) | instid1(VALU_DEP_2)
	v_add_f64_e32 v[4:5], v[4:5], v[0:1]
	v_add_f64_e32 v[138:139], v[140:141], v[138:139]
	v_fma_f64 v[140:141], v[168:169], s[2:3], v[170:171]
	s_delay_alu instid0(VALU_DEP_1) | instskip(SKIP_1) | instid1(VALU_DEP_1)
	v_add_f64_e32 v[136:137], v[140:141], v[136:137]
	v_fma_f64 v[140:141], v[174:175], s[2:3], -v[176:177]
	v_add_f64_e32 v[138:139], v[140:141], v[138:139]
	v_fma_f64 v[140:141], v[67:68], s[10:11], -v[178:179]
	s_delay_alu instid0(VALU_DEP_1) | instskip(SKIP_1) | instid1(VALU_DEP_1)
	v_add_f64_e32 v[117:118], v[140:141], v[117:118]
	v_fma_f64 v[140:141], v[93:94], s[10:11], v[180:181]
	v_add_f64_e32 v[113:114], v[140:141], v[113:114]
	v_fma_f64 v[140:141], v[97:98], s[2:3], -v[182:183]
	s_delay_alu instid0(VALU_DEP_1) | instskip(SKIP_1) | instid1(VALU_DEP_1)
	v_add_f64_e32 v[117:118], v[140:141], v[117:118]
	v_fma_f64 v[140:141], v[115:116], s[2:3], v[184:185]
	;; [unrolled: 5-line block ×4, first 2 shown]
	v_add_f64_e32 v[113:114], v[140:141], v[113:114]
	v_fma_f64 v[140:141], v[168:169], s[16:17], -v[194:195]
	s_delay_alu instid0(VALU_DEP_1) | instskip(SKIP_1) | instid1(VALU_DEP_1)
	v_add_f64_e32 v[140:141], v[140:141], v[117:118]
	v_mul_f64_e32 v[117:118], s[20:21], v[172:173]
	v_fma_f64 v[142:143], v[174:175], s[16:17], v[117:118]
	s_delay_alu instid0(VALU_DEP_1) | instskip(SKIP_1) | instid1(VALU_DEP_1)
	v_add_f64_e32 v[142:143], v[142:143], v[113:114]
	v_mul_f64_e32 v[113:114], s[28:29], v[91:92]
	v_fma_f64 v[196:197], v[67:68], s[2:3], -v[113:114]
	s_delay_alu instid0(VALU_DEP_1) | instskip(SKIP_2) | instid1(VALU_DEP_1)
	v_add_f64_e32 v[111:112], v[196:197], v[111:112]
	v_mul_f64_e32 v[196:197], s[28:29], v[125:126]
	s_mov_b32 s29, 0x3fcea1e5
	v_fma_f64 v[198:199], v[93:94], s[2:3], v[196:197]
	s_delay_alu instid0(VALU_DEP_1) | instskip(SKIP_1) | instid1(VALU_DEP_1)
	v_add_f64_e32 v[109:110], v[198:199], v[109:110]
	v_mul_f64_e32 v[198:199], s[36:37], v[127:128]
	v_fma_f64 v[200:201], v[97:98], s[10:11], -v[198:199]
	s_delay_alu instid0(VALU_DEP_1) | instskip(SKIP_1) | instid1(VALU_DEP_1)
	v_add_f64_e32 v[111:112], v[200:201], v[111:112]
	v_mul_f64_e32 v[200:201], s[36:37], v[144:145]
	v_fma_f64 v[202:203], v[115:116], s[10:11], v[200:201]
	s_delay_alu instid0(VALU_DEP_1) | instskip(SKIP_1) | instid1(VALU_DEP_1)
	v_add_f64_e32 v[109:110], v[202:203], v[109:110]
	v_mul_f64_e32 v[202:203], s[20:21], v[146:147]
	v_fma_f64 v[204:205], v[121:122], s[16:17], -v[202:203]
	s_delay_alu instid0(VALU_DEP_1) | instskip(SKIP_1) | instid1(VALU_DEP_1)
	v_add_f64_e32 v[111:112], v[204:205], v[111:112]
	v_mul_f64_e32 v[204:205], s[20:21], v[148:149]
	;; [unrolled: 8-line block ×3, first 2 shown]
	v_fma_f64 v[210:211], v[162:163], s[12:13], v[208:209]
	s_delay_alu instid0(VALU_DEP_1) | instskip(SKIP_1) | instid1(VALU_DEP_1)
	v_add_f64_e32 v[210:211], v[210:211], v[109:110]
	v_fma_f64 v[109:110], v[168:169], s[6:7], -v[212:213]
	v_add_f64_e32 v[109:110], v[109:110], v[111:112]
	v_fma_f64 v[111:112], v[174:175], s[6:7], v[214:215]
	s_delay_alu instid0(VALU_DEP_1) | instskip(SKIP_1) | instid1(VALU_DEP_1)
	v_add_f64_e32 v[111:112], v[111:112], v[210:211]
	v_mul_f64_e32 v[210:211], s[34:35], v[91:92]
	v_fma_f64 v[216:217], v[67:68], s[6:7], -v[210:211]
	s_delay_alu instid0(VALU_DEP_1) | instskip(SKIP_1) | instid1(VALU_DEP_1)
	v_add_f64_e32 v[107:108], v[216:217], v[107:108]
	v_mul_f64_e32 v[216:217], s[34:35], v[125:126]
	v_fma_f64 v[218:219], v[93:94], s[6:7], v[216:217]
	s_delay_alu instid0(VALU_DEP_1) | instskip(SKIP_1) | instid1(VALU_DEP_1)
	v_add_f64_e32 v[105:106], v[218:219], v[105:106]
	v_mul_f64_e32 v[218:219], s[20:21], v[127:128]
	v_fma_f64 v[220:221], v[97:98], s[16:17], -v[218:219]
	s_delay_alu instid0(VALU_DEP_1) | instskip(SKIP_1) | instid1(VALU_DEP_1)
	v_add_f64_e32 v[107:108], v[220:221], v[107:108]
	v_mul_f64_e32 v[220:221], s[20:21], v[144:145]
	v_fma_f64 v[222:223], v[115:116], s[16:17], v[220:221]
	s_delay_alu instid0(VALU_DEP_1) | instskip(SKIP_1) | instid1(VALU_DEP_1)
	v_add_f64_e32 v[105:106], v[222:223], v[105:106]
	v_mul_f64_e32 v[222:223], s[26:27], v[146:147]
	v_fma_f64 v[224:225], v[121:122], s[14:15], -v[222:223]
	s_delay_alu instid0(VALU_DEP_1)
	v_add_f64_e32 v[107:108], v[224:225], v[107:108]
	v_mul_f64_e32 v[224:225], s[26:27], v[148:149]
	s_mov_b32 s27, 0x3fea55e2
	s_mov_b32 s26, s24
	s_wait_alu 0xfffe
	v_mul_f64_e32 v[232:233], s[26:27], v[166:167]
	v_mul_f64_e32 v[234:235], s[26:27], v[172:173]
	;; [unrolled: 1-line block ×4, first 2 shown]
	v_fma_f64 v[226:227], v[150:151], s[14:15], v[224:225]
	s_delay_alu instid0(VALU_DEP_1) | instskip(SKIP_1) | instid1(VALU_DEP_1)
	v_add_f64_e32 v[105:106], v[226:227], v[105:106]
	v_mul_f64_e32 v[226:227], s[28:29], v[154:155]
	v_fma_f64 v[228:229], v[156:157], s[2:3], -v[226:227]
	s_delay_alu instid0(VALU_DEP_1) | instskip(SKIP_1) | instid1(VALU_DEP_1)
	v_add_f64_e32 v[107:108], v[228:229], v[107:108]
	v_mul_f64_e32 v[228:229], s[28:29], v[160:161]
	v_fma_f64 v[230:231], v[162:163], s[2:3], v[228:229]
	s_delay_alu instid0(VALU_DEP_1) | instskip(SKIP_1) | instid1(VALU_DEP_1)
	v_add_f64_e32 v[230:231], v[230:231], v[105:106]
	v_fma_f64 v[105:106], v[168:169], s[12:13], -v[232:233]
	v_add_f64_e32 v[105:106], v[105:106], v[107:108]
	v_fma_f64 v[107:108], v[174:175], s[12:13], v[234:235]
	s_delay_alu instid0(VALU_DEP_1) | instskip(SKIP_2) | instid1(VALU_DEP_2)
	v_add_f64_e32 v[107:108], v[107:108], v[230:231]
	v_mul_f64_e32 v[230:231], s[30:31], v[91:92]
	v_mul_f64_e32 v[91:92], s[20:21], v[91:92]
	v_fma_f64 v[236:237], v[67:68], s[14:15], -v[230:231]
	s_delay_alu instid0(VALU_DEP_1) | instskip(SKIP_2) | instid1(VALU_DEP_2)
	v_add_f64_e32 v[103:104], v[236:237], v[103:104]
	v_mul_f64_e32 v[236:237], s[30:31], v[125:126]
	v_mul_f64_e32 v[125:126], s[20:21], v[125:126]
	v_fma_f64 v[238:239], v[93:94], s[14:15], v[236:237]
	s_delay_alu instid0(VALU_DEP_1) | instskip(SKIP_2) | instid1(VALU_DEP_2)
	v_add_f64_e32 v[101:102], v[238:239], v[101:102]
	v_mul_f64_e32 v[238:239], s[24:25], v[127:128]
	v_mul_f64_e32 v[127:128], s[22:23], v[127:128]
	v_fma_f64 v[240:241], v[97:98], s[12:13], -v[238:239]
	s_delay_alu instid0(VALU_DEP_1) | instskip(SKIP_2) | instid1(VALU_DEP_2)
	v_add_f64_e32 v[103:104], v[240:241], v[103:104]
	v_mul_f64_e32 v[240:241], s[24:25], v[144:145]
	v_mul_f64_e32 v[144:145], s[22:23], v[144:145]
	;; [unrolled: 10-line block ×4, first 2 shown]
	v_fma_f64 v[250:251], v[162:163], s[16:17], v[248:249]
	s_delay_alu instid0(VALU_DEP_1) | instskip(SKIP_1) | instid1(VALU_DEP_1)
	v_add_f64_e32 v[250:251], v[250:251], v[101:102]
	v_fma_f64 v[101:102], v[168:169], s[10:11], -v[252:253]
	v_add_f64_e32 v[101:102], v[101:102], v[103:104]
	v_fma_f64 v[103:104], v[174:175], s[10:11], v[254:255]
	s_delay_alu instid0(VALU_DEP_1) | instskip(SKIP_2) | instid1(VALU_DEP_2)
	v_add_f64_e32 v[103:104], v[103:104], v[250:251]
	v_fma_f64 v[250:251], v[67:68], s[16:17], -v[91:92]
	v_fma_f64 v[91:92], v[67:68], s[16:17], v[91:92]
	v_add_f64_e32 v[89:90], v[250:251], v[89:90]
	s_delay_alu instid0(VALU_DEP_2) | instskip(SKIP_3) | instid1(VALU_DEP_3)
	v_add_f64_e32 v[85:86], v[91:92], v[85:86]
	v_fma_f64 v[91:92], v[93:94], s[16:17], -v[125:126]
	v_fma_f64 v[250:251], v[93:94], s[16:17], v[125:126]
	v_fma_f64 v[125:126], v[174:175], s[14:15], -v[172:173]
	v_add_f64_e32 v[83:84], v[91:92], v[83:84]
	v_fma_f64 v[91:92], v[97:98], s[6:7], v[127:128]
	s_delay_alu instid0(VALU_DEP_4) | instskip(SKIP_1) | instid1(VALU_DEP_3)
	v_add_f64_e32 v[87:88], v[250:251], v[87:88]
	v_fma_f64 v[250:251], v[97:98], s[6:7], -v[127:128]
	v_add_f64_e32 v[85:86], v[91:92], v[85:86]
	v_fma_f64 v[91:92], v[115:116], s[6:7], -v[144:145]
	s_delay_alu instid0(VALU_DEP_3) | instskip(SKIP_1) | instid1(VALU_DEP_3)
	v_add_f64_e32 v[89:90], v[250:251], v[89:90]
	v_fma_f64 v[250:251], v[115:116], s[6:7], v[144:145]
	v_add_f64_e32 v[83:84], v[91:92], v[83:84]
	v_fma_f64 v[91:92], v[121:122], s[12:13], v[146:147]
	s_delay_alu instid0(VALU_DEP_3) | instskip(SKIP_1) | instid1(VALU_DEP_3)
	v_add_f64_e32 v[87:88], v[250:251], v[87:88]
	v_fma_f64 v[250:251], v[121:122], s[12:13], -v[146:147]
	v_add_f64_e32 v[85:86], v[91:92], v[85:86]
	v_fma_f64 v[91:92], v[150:151], s[12:13], -v[148:149]
	s_delay_alu instid0(VALU_DEP_3) | instskip(SKIP_1) | instid1(VALU_DEP_3)
	v_add_f64_e32 v[89:90], v[250:251], v[89:90]
	v_fma_f64 v[250:251], v[150:151], s[12:13], v[148:149]
	v_add_f64_e32 v[83:84], v[91:92], v[83:84]
	v_fma_f64 v[91:92], v[156:157], s[10:11], v[154:155]
	s_delay_alu instid0(VALU_DEP_3) | instskip(SKIP_1) | instid1(VALU_DEP_3)
	;; [unrolled: 10-line block ×3, first 2 shown]
	v_add_f64_e32 v[250:251], v[250:251], v[87:88]
	v_fma_f64 v[87:88], v[168:169], s[14:15], -v[166:167]
	v_add_f64_e32 v[83:84], v[83:84], v[85:86]
	v_add_f64_e32 v[85:86], v[125:126], v[91:92]
	v_fma_f64 v[91:92], v[67:68], s[14:15], v[230:231]
	v_fma_f64 v[125:126], v[174:175], s[10:11], -v[254:255]
	v_add_f64_e32 v[87:88], v[87:88], v[89:90]
	v_fma_f64 v[89:90], v[174:175], s[14:15], v[172:173]
	s_delay_alu instid0(VALU_DEP_4) | instskip(SKIP_1) | instid1(VALU_DEP_3)
	v_add_f64_e32 v[81:82], v[91:92], v[81:82]
	v_fma_f64 v[91:92], v[93:94], s[14:15], -v[236:237]
	v_add_f64_e32 v[89:90], v[89:90], v[250:251]
	s_delay_alu instid0(VALU_DEP_2) | instskip(SKIP_1) | instid1(VALU_DEP_1)
	v_add_f64_e32 v[79:80], v[91:92], v[79:80]
	v_fma_f64 v[91:92], v[97:98], s[12:13], v[238:239]
	v_add_f64_e32 v[81:82], v[91:92], v[81:82]
	v_fma_f64 v[91:92], v[115:116], s[12:13], -v[240:241]
	s_delay_alu instid0(VALU_DEP_1) | instskip(SKIP_1) | instid1(VALU_DEP_1)
	v_add_f64_e32 v[79:80], v[91:92], v[79:80]
	v_fma_f64 v[91:92], v[121:122], s[2:3], v[242:243]
	v_add_f64_e32 v[81:82], v[91:92], v[81:82]
	v_fma_f64 v[91:92], v[150:151], s[2:3], -v[244:245]
	s_delay_alu instid0(VALU_DEP_1) | instskip(SKIP_1) | instid1(VALU_DEP_1)
	;; [unrolled: 5-line block ×3, first 2 shown]
	v_add_f64_e32 v[91:92], v[91:92], v[79:80]
	v_fma_f64 v[79:80], v[168:169], s[10:11], v[252:253]
	v_add_f64_e32 v[79:80], v[79:80], v[81:82]
	s_delay_alu instid0(VALU_DEP_3) | instskip(SKIP_2) | instid1(VALU_DEP_2)
	v_add_f64_e32 v[81:82], v[125:126], v[91:92]
	v_fma_f64 v[91:92], v[67:68], s[6:7], v[210:211]
	v_fma_f64 v[125:126], v[174:175], s[12:13], -v[234:235]
	v_add_f64_e32 v[77:78], v[91:92], v[77:78]
	v_fma_f64 v[91:92], v[93:94], s[6:7], -v[216:217]
	s_delay_alu instid0(VALU_DEP_1) | instskip(SKIP_1) | instid1(VALU_DEP_1)
	v_add_f64_e32 v[75:76], v[91:92], v[75:76]
	v_fma_f64 v[91:92], v[97:98], s[16:17], v[218:219]
	v_add_f64_e32 v[77:78], v[91:92], v[77:78]
	v_fma_f64 v[91:92], v[115:116], s[16:17], -v[220:221]
	s_delay_alu instid0(VALU_DEP_1) | instskip(SKIP_1) | instid1(VALU_DEP_1)
	v_add_f64_e32 v[75:76], v[91:92], v[75:76]
	v_fma_f64 v[91:92], v[121:122], s[14:15], v[222:223]
	;; [unrolled: 5-line block ×4, first 2 shown]
	v_add_f64_e32 v[75:76], v[75:76], v[77:78]
	s_delay_alu instid0(VALU_DEP_3) | instskip(SKIP_2) | instid1(VALU_DEP_2)
	v_add_f64_e32 v[77:78], v[125:126], v[91:92]
	v_fma_f64 v[91:92], v[67:68], s[2:3], v[113:114]
	v_fma_f64 v[113:114], v[174:175], s[6:7], -v[214:215]
	v_add_f64_e32 v[73:74], v[91:92], v[73:74]
	v_fma_f64 v[91:92], v[93:94], s[2:3], -v[196:197]
	s_delay_alu instid0(VALU_DEP_1) | instskip(SKIP_1) | instid1(VALU_DEP_1)
	v_add_f64_e32 v[71:72], v[91:92], v[71:72]
	v_fma_f64 v[91:92], v[97:98], s[10:11], v[198:199]
	v_add_f64_e32 v[73:74], v[91:92], v[73:74]
	v_fma_f64 v[91:92], v[115:116], s[10:11], -v[200:201]
	s_delay_alu instid0(VALU_DEP_1) | instskip(SKIP_1) | instid1(VALU_DEP_1)
	v_add_f64_e32 v[71:72], v[91:92], v[71:72]
	v_fma_f64 v[91:92], v[121:122], s[16:17], v[202:203]
	;; [unrolled: 5-line block ×4, first 2 shown]
	v_add_f64_e32 v[71:72], v[71:72], v[73:74]
	s_delay_alu instid0(VALU_DEP_3) | instskip(SKIP_4) | instid1(VALU_DEP_4)
	v_add_f64_e32 v[73:74], v[113:114], v[91:92]
	v_fma_f64 v[91:92], v[67:68], s[10:11], v[178:179]
	v_fma_f64 v[113:114], v[174:175], s[16:17], -v[117:118]
	v_fma_f64 v[67:68], v[67:68], s[12:13], -v[69:70]
	v_fma_f64 v[69:70], v[93:94], s[12:13], v[95:96]
	v_add_f64_e32 v[54:55], v[91:92], v[54:55]
	v_fma_f64 v[91:92], v[93:94], s[10:11], -v[180:181]
	v_fma_f64 v[93:94], v[115:116], s[14:15], v[119:120]
	v_add_f64_e32 v[48:49], v[67:68], v[48:49]
	v_add_f64_e32 v[50:51], v[69:70], v[50:51]
	v_fma_f64 v[67:68], v[121:122], s[10:11], -v[123:124]
	v_fma_f64 v[69:70], v[150:151], s[10:11], v[152:153]
	v_add_f64_e32 v[52:53], v[91:92], v[52:53]
	v_fma_f64 v[91:92], v[97:98], s[2:3], v[182:183]
	v_add_f64_e32 v[50:51], v[93:94], v[50:51]
	v_fma_f64 v[93:94], v[162:163], s[6:7], v[164:165]
	s_delay_alu instid0(VALU_DEP_3) | instskip(SKIP_1) | instid1(VALU_DEP_4)
	v_add_f64_e32 v[54:55], v[91:92], v[54:55]
	v_fma_f64 v[91:92], v[115:116], s[2:3], -v[184:185]
	v_add_f64_e32 v[50:51], v[69:70], v[50:51]
	v_fma_f64 v[69:70], v[174:175], s[2:3], v[176:177]
	s_delay_alu instid0(VALU_DEP_3) | instskip(SKIP_1) | instid1(VALU_DEP_4)
	v_add_f64_e32 v[52:53], v[91:92], v[52:53]
	v_fma_f64 v[91:92], v[121:122], s[6:7], v[186:187]
	v_add_f64_e32 v[50:51], v[93:94], v[50:51]
	s_delay_alu instid0(VALU_DEP_2) | instskip(SKIP_1) | instid1(VALU_DEP_3)
	v_add_f64_e32 v[54:55], v[91:92], v[54:55]
	v_fma_f64 v[91:92], v[150:151], s[6:7], -v[188:189]
	v_add_f64_e32 v[50:51], v[69:70], v[50:51]
	s_delay_alu instid0(VALU_DEP_2) | instskip(SKIP_1) | instid1(VALU_DEP_1)
	v_add_f64_e32 v[52:53], v[91:92], v[52:53]
	v_fma_f64 v[91:92], v[156:157], s[14:15], v[190:191]
	v_add_f64_e32 v[54:55], v[91:92], v[54:55]
	v_fma_f64 v[91:92], v[162:163], s[14:15], -v[192:193]
	s_delay_alu instid0(VALU_DEP_1) | instskip(SKIP_1) | instid1(VALU_DEP_1)
	v_add_f64_e32 v[91:92], v[91:92], v[52:53]
	v_fma_f64 v[52:53], v[168:169], s[16:17], v[194:195]
	v_add_f64_e32 v[52:53], v[52:53], v[54:55]
	s_delay_alu instid0(VALU_DEP_3) | instskip(SKIP_1) | instid1(VALU_DEP_1)
	v_add_f64_e32 v[54:55], v[113:114], v[91:92]
	v_fma_f64 v[91:92], v[97:98], s[14:15], -v[99:100]
	v_add_f64_e32 v[48:49], v[91:92], v[48:49]
	v_fma_f64 v[91:92], v[156:157], s[6:7], -v[158:159]
	s_delay_alu instid0(VALU_DEP_2) | instskip(SKIP_2) | instid1(VALU_DEP_2)
	v_add_f64_e32 v[48:49], v[67:68], v[48:49]
	v_fma_f64 v[67:68], v[168:169], s[2:3], -v[170:171]
	s_mov_b32 s2, exec_lo
	v_add_f64_e32 v[48:49], v[91:92], v[48:49]
	s_delay_alu instid0(VALU_DEP_1)
	v_add_f64_e32 v[48:49], v[67:68], v[48:49]
	ds_store_b128 v57, v[140:143] offset:832
	ds_store_b128 v57, v[109:112] offset:1248
	;; [unrolled: 1-line block ×12, first 2 shown]
	ds_store_b128 v57, v[2:5]
	global_wb scope:SCOPE_SE
	s_wait_dscnt 0x0
	s_barrier_signal -1
	s_barrier_wait -1
	global_inv scope:SCOPE_SE
	ds_load_b128 v[4:7], v129
                                        ; implicit-def: $vgpr2_vgpr3
	v_cmpx_ne_u32_e32 0, v56
	s_wait_alu 0xfffe
	s_xor_b32 s2, exec_lo, s2
	s_cbranch_execz .LBB0_19
; %bb.18:
	v_mov_b32_e32 v57, 0
	s_delay_alu instid0(VALU_DEP_1) | instskip(NEXT) | instid1(VALU_DEP_1)
	v_lshlrev_b64_e32 v[0:1], 4, v[56:57]
	v_add_co_u32 v0, s1, s4, v0
	s_wait_alu 0xf1ff
	s_delay_alu instid0(VALU_DEP_2)
	v_add_co_ci_u32_e64 v1, s1, s5, v1, s1
	global_load_b128 v[11:14], v[0:1], off offset:5200
	ds_load_b128 v[0:3], v10 offset:5408
	s_wait_dscnt 0x0
	v_add_f64_e64 v[8:9], v[4:5], -v[0:1]
	v_add_f64_e32 v[15:16], v[6:7], v[2:3]
	v_add_f64_e64 v[2:3], v[6:7], -v[2:3]
	v_add_f64_e32 v[0:1], v[4:5], v[0:1]
	s_delay_alu instid0(VALU_DEP_4) | instskip(NEXT) | instid1(VALU_DEP_4)
	v_mul_f64_e32 v[6:7], 0.5, v[8:9]
	v_mul_f64_e32 v[4:5], 0.5, v[15:16]
	s_delay_alu instid0(VALU_DEP_4) | instskip(SKIP_1) | instid1(VALU_DEP_3)
	v_mul_f64_e32 v[2:3], 0.5, v[2:3]
	s_wait_loadcnt 0x0
	v_mul_f64_e32 v[8:9], v[6:7], v[13:14]
	s_delay_alu instid0(VALU_DEP_2) | instskip(SKIP_1) | instid1(VALU_DEP_3)
	v_fma_f64 v[15:16], v[4:5], v[13:14], v[2:3]
	v_fma_f64 v[2:3], v[4:5], v[13:14], -v[2:3]
	v_fma_f64 v[17:18], v[0:1], 0.5, v[8:9]
	v_fma_f64 v[0:1], v[0:1], 0.5, -v[8:9]
	s_delay_alu instid0(VALU_DEP_4) | instskip(NEXT) | instid1(VALU_DEP_4)
	v_fma_f64 v[8:9], -v[11:12], v[6:7], v[15:16]
	v_fma_f64 v[2:3], -v[11:12], v[6:7], v[2:3]
	s_delay_alu instid0(VALU_DEP_4) | instskip(NEXT) | instid1(VALU_DEP_4)
	v_fma_f64 v[13:14], v[4:5], v[11:12], v[17:18]
	v_fma_f64 v[0:1], -v[4:5], v[11:12], v[0:1]
                                        ; implicit-def: $vgpr4_vgpr5
	ds_store_b64 v129, v[13:14]
.LBB0_19:
	s_wait_alu 0xfffe
	s_and_not1_saveexec_b32 s1, s2
	s_cbranch_execz .LBB0_21
; %bb.20:
	s_wait_dscnt 0x0
	v_add_f64_e32 v[11:12], v[4:5], v[6:7]
	v_add_f64_e64 v[0:1], v[4:5], -v[6:7]
	ds_load_b64 v[4:5], v130 offset:2712
	v_mov_b32_e32 v8, 0
	v_mov_b32_e32 v9, 0
	s_delay_alu instid0(VALU_DEP_1)
	v_dual_mov_b32 v2, v8 :: v_dual_mov_b32 v3, v9
	s_wait_dscnt 0x0
	v_xor_b32_e32 v5, 0x80000000, v5
	ds_store_b64 v129, v[11:12]
	ds_store_b64 v130, v[4:5] offset:2712
.LBB0_21:
	s_wait_alu 0xfffe
	s_or_b32 exec_lo, exec_lo, s1
	v_mov_b32_e32 v62, 0
	s_wait_dscnt 0x0
	s_delay_alu instid0(VALU_DEP_1) | instskip(SKIP_1) | instid1(VALU_DEP_1)
	v_lshlrev_b64_e32 v[4:5], 4, v[61:62]
	v_mov_b32_e32 v67, v62
	v_lshlrev_b64_e32 v[11:12], 4, v[66:67]
	v_mov_b32_e32 v66, v62
	s_delay_alu instid0(VALU_DEP_4) | instskip(SKIP_2) | instid1(VALU_DEP_4)
	v_add_co_u32 v4, s1, s4, v4
	s_wait_alu 0xf1ff
	v_add_co_ci_u32_e64 v5, s1, s5, v5, s1
	v_add_co_u32 v11, s1, s4, v11
	s_wait_alu 0xf1ff
	v_add_co_ci_u32_e64 v12, s1, s5, v12, s1
	s_clause 0x1
	global_load_b128 v[4:7], v[4:5], off offset:5200
	global_load_b128 v[11:14], v[11:12], off offset:5200
	ds_store_b64 v129, v[8:9] offset:8
	ds_store_b128 v10, v[0:3] offset:5408
	ds_load_b128 v[0:3], v135
	ds_load_b128 v[15:18], v10 offset:4992
	s_wait_dscnt 0x0
	v_add_f64_e64 v[8:9], v[0:1], -v[15:16]
	v_add_f64_e32 v[19:20], v[2:3], v[17:18]
	v_add_f64_e64 v[2:3], v[2:3], -v[17:18]
	v_add_f64_e32 v[0:1], v[0:1], v[15:16]
	s_delay_alu instid0(VALU_DEP_4) | instskip(NEXT) | instid1(VALU_DEP_4)
	v_mul_f64_e32 v[8:9], 0.5, v[8:9]
	v_mul_f64_e32 v[17:18], 0.5, v[19:20]
	s_delay_alu instid0(VALU_DEP_4) | instskip(SKIP_1) | instid1(VALU_DEP_3)
	v_mul_f64_e32 v[2:3], 0.5, v[2:3]
	s_wait_loadcnt 0x1
	v_mul_f64_e32 v[15:16], v[8:9], v[6:7]
	s_delay_alu instid0(VALU_DEP_2) | instskip(SKIP_1) | instid1(VALU_DEP_3)
	v_fma_f64 v[19:20], v[17:18], v[6:7], v[2:3]
	v_fma_f64 v[6:7], v[17:18], v[6:7], -v[2:3]
	v_fma_f64 v[21:22], v[0:1], 0.5, v[15:16]
	v_fma_f64 v[15:16], v[0:1], 0.5, -v[15:16]
	s_delay_alu instid0(VALU_DEP_4) | instskip(NEXT) | instid1(VALU_DEP_4)
	v_fma_f64 v[2:3], -v[4:5], v[8:9], v[19:20]
	v_fma_f64 v[6:7], -v[4:5], v[8:9], v[6:7]
	v_lshlrev_b64_e32 v[8:9], 4, v[65:66]
	v_mov_b32_e32 v65, v62
	s_delay_alu instid0(VALU_DEP_2) | instskip(SKIP_1) | instid1(VALU_DEP_3)
	v_add_co_u32 v8, s1, s4, v8
	s_wait_alu 0xf1ff
	v_add_co_ci_u32_e64 v9, s1, s5, v9, s1
	v_fma_f64 v[0:1], v[17:18], v[4:5], v[21:22]
	v_fma_f64 v[4:5], -v[17:18], v[4:5], v[15:16]
	global_load_b128 v[15:18], v[8:9], off offset:5200
	ds_store_b128 v135, v[0:3]
	ds_store_b128 v10, v[4:7] offset:4992
	ds_load_b128 v[0:3], v134
	ds_load_b128 v[4:7], v10 offset:4576
	s_wait_dscnt 0x0
	v_add_f64_e64 v[8:9], v[0:1], -v[4:5]
	v_add_f64_e32 v[19:20], v[2:3], v[6:7]
	v_add_f64_e64 v[2:3], v[2:3], -v[6:7]
	v_add_f64_e32 v[0:1], v[0:1], v[4:5]
	s_delay_alu instid0(VALU_DEP_4) | instskip(NEXT) | instid1(VALU_DEP_4)
	v_mul_f64_e32 v[6:7], 0.5, v[8:9]
	v_mul_f64_e32 v[8:9], 0.5, v[19:20]
	s_delay_alu instid0(VALU_DEP_4) | instskip(SKIP_1) | instid1(VALU_DEP_3)
	v_mul_f64_e32 v[2:3], 0.5, v[2:3]
	s_wait_loadcnt 0x1
	v_mul_f64_e32 v[4:5], v[6:7], v[13:14]
	s_delay_alu instid0(VALU_DEP_2) | instskip(SKIP_1) | instid1(VALU_DEP_3)
	v_fma_f64 v[19:20], v[8:9], v[13:14], v[2:3]
	v_fma_f64 v[13:14], v[8:9], v[13:14], -v[2:3]
	v_fma_f64 v[21:22], v[0:1], 0.5, v[4:5]
	v_fma_f64 v[4:5], v[0:1], 0.5, -v[4:5]
	s_delay_alu instid0(VALU_DEP_4) | instskip(NEXT) | instid1(VALU_DEP_4)
	v_fma_f64 v[2:3], -v[11:12], v[6:7], v[19:20]
	v_fma_f64 v[6:7], -v[11:12], v[6:7], v[13:14]
	s_delay_alu instid0(VALU_DEP_4) | instskip(NEXT) | instid1(VALU_DEP_4)
	v_fma_f64 v[0:1], v[8:9], v[11:12], v[21:22]
	v_fma_f64 v[4:5], -v[8:9], v[11:12], v[4:5]
	v_lshlrev_b64_e32 v[8:9], 4, v[64:65]
	v_mov_b32_e32 v64, v62
	s_delay_alu instid0(VALU_DEP_2) | instskip(SKIP_1) | instid1(VALU_DEP_3)
	v_add_co_u32 v8, s1, s4, v8
	s_wait_alu 0xf1ff
	v_add_co_ci_u32_e64 v9, s1, s5, v9, s1
	global_load_b128 v[11:14], v[8:9], off offset:5200
	ds_store_b128 v134, v[0:3]
	ds_store_b128 v10, v[4:7] offset:4576
	ds_load_b128 v[0:3], v133
	ds_load_b128 v[4:7], v10 offset:4160
	s_wait_dscnt 0x0
	v_add_f64_e64 v[8:9], v[0:1], -v[4:5]
	v_add_f64_e32 v[19:20], v[2:3], v[6:7]
	v_add_f64_e64 v[2:3], v[2:3], -v[6:7]
	v_add_f64_e32 v[0:1], v[0:1], v[4:5]
	s_delay_alu instid0(VALU_DEP_4) | instskip(NEXT) | instid1(VALU_DEP_4)
	v_mul_f64_e32 v[6:7], 0.5, v[8:9]
	v_mul_f64_e32 v[8:9], 0.5, v[19:20]
	s_delay_alu instid0(VALU_DEP_4) | instskip(SKIP_1) | instid1(VALU_DEP_3)
	v_mul_f64_e32 v[2:3], 0.5, v[2:3]
	s_wait_loadcnt 0x1
	v_mul_f64_e32 v[4:5], v[6:7], v[17:18]
	s_delay_alu instid0(VALU_DEP_2) | instskip(SKIP_1) | instid1(VALU_DEP_3)
	v_fma_f64 v[19:20], v[8:9], v[17:18], v[2:3]
	v_fma_f64 v[17:18], v[8:9], v[17:18], -v[2:3]
	v_fma_f64 v[21:22], v[0:1], 0.5, v[4:5]
	v_fma_f64 v[4:5], v[0:1], 0.5, -v[4:5]
	s_delay_alu instid0(VALU_DEP_4) | instskip(NEXT) | instid1(VALU_DEP_4)
	v_fma_f64 v[2:3], -v[15:16], v[6:7], v[19:20]
	v_fma_f64 v[6:7], -v[15:16], v[6:7], v[17:18]
	s_delay_alu instid0(VALU_DEP_4) | instskip(NEXT) | instid1(VALU_DEP_4)
	v_fma_f64 v[0:1], v[8:9], v[15:16], v[21:22]
	v_fma_f64 v[4:5], -v[8:9], v[15:16], v[4:5]
	v_lshlrev_b64_e32 v[8:9], 4, v[63:64]
	s_delay_alu instid0(VALU_DEP_1) | instskip(SKIP_1) | instid1(VALU_DEP_2)
	v_add_co_u32 v8, s1, s4, v8
	s_wait_alu 0xf1ff
	v_add_co_ci_u32_e64 v9, s1, s5, v9, s1
	global_load_b128 v[15:18], v[8:9], off offset:5200
	ds_store_b128 v133, v[0:3]
	ds_store_b128 v10, v[4:7] offset:4160
	ds_load_b128 v[0:3], v132
	ds_load_b128 v[4:7], v10 offset:3744
	s_wait_dscnt 0x0
	v_add_f64_e64 v[8:9], v[0:1], -v[4:5]
	v_add_f64_e32 v[19:20], v[2:3], v[6:7]
	v_add_f64_e64 v[2:3], v[2:3], -v[6:7]
	v_add_f64_e32 v[0:1], v[0:1], v[4:5]
	s_delay_alu instid0(VALU_DEP_4) | instskip(NEXT) | instid1(VALU_DEP_4)
	v_mul_f64_e32 v[6:7], 0.5, v[8:9]
	v_mul_f64_e32 v[8:9], 0.5, v[19:20]
	s_delay_alu instid0(VALU_DEP_4) | instskip(SKIP_1) | instid1(VALU_DEP_3)
	v_mul_f64_e32 v[2:3], 0.5, v[2:3]
	s_wait_loadcnt 0x1
	v_mul_f64_e32 v[4:5], v[6:7], v[13:14]
	s_delay_alu instid0(VALU_DEP_2) | instskip(SKIP_1) | instid1(VALU_DEP_3)
	v_fma_f64 v[19:20], v[8:9], v[13:14], v[2:3]
	v_fma_f64 v[13:14], v[8:9], v[13:14], -v[2:3]
	v_fma_f64 v[21:22], v[0:1], 0.5, v[4:5]
	v_fma_f64 v[4:5], v[0:1], 0.5, -v[4:5]
	s_delay_alu instid0(VALU_DEP_4) | instskip(NEXT) | instid1(VALU_DEP_4)
	v_fma_f64 v[2:3], -v[11:12], v[6:7], v[19:20]
	v_fma_f64 v[6:7], -v[11:12], v[6:7], v[13:14]
	s_delay_alu instid0(VALU_DEP_4) | instskip(NEXT) | instid1(VALU_DEP_4)
	v_fma_f64 v[0:1], v[8:9], v[11:12], v[21:22]
	v_fma_f64 v[4:5], -v[8:9], v[11:12], v[4:5]
	ds_store_b128 v132, v[0:3]
	ds_store_b128 v10, v[4:7] offset:3744
	ds_load_b128 v[0:3], v131
	ds_load_b128 v[4:7], v10 offset:3328
	s_wait_dscnt 0x0
	v_add_f64_e64 v[8:9], v[0:1], -v[4:5]
	v_add_f64_e32 v[11:12], v[2:3], v[6:7]
	v_add_f64_e64 v[2:3], v[2:3], -v[6:7]
	v_add_f64_e32 v[0:1], v[0:1], v[4:5]
	s_delay_alu instid0(VALU_DEP_4) | instskip(NEXT) | instid1(VALU_DEP_4)
	v_mul_f64_e32 v[6:7], 0.5, v[8:9]
	v_mul_f64_e32 v[8:9], 0.5, v[11:12]
	s_delay_alu instid0(VALU_DEP_4) | instskip(SKIP_1) | instid1(VALU_DEP_3)
	v_mul_f64_e32 v[2:3], 0.5, v[2:3]
	s_wait_loadcnt 0x0
	v_mul_f64_e32 v[4:5], v[6:7], v[17:18]
	s_delay_alu instid0(VALU_DEP_2) | instskip(SKIP_1) | instid1(VALU_DEP_3)
	v_fma_f64 v[11:12], v[8:9], v[17:18], v[2:3]
	v_fma_f64 v[13:14], v[8:9], v[17:18], -v[2:3]
	v_fma_f64 v[17:18], v[0:1], 0.5, v[4:5]
	v_fma_f64 v[4:5], v[0:1], 0.5, -v[4:5]
	s_delay_alu instid0(VALU_DEP_4) | instskip(NEXT) | instid1(VALU_DEP_4)
	v_fma_f64 v[2:3], -v[15:16], v[6:7], v[11:12]
	v_fma_f64 v[6:7], -v[15:16], v[6:7], v[13:14]
	s_delay_alu instid0(VALU_DEP_4) | instskip(NEXT) | instid1(VALU_DEP_4)
	v_fma_f64 v[0:1], v[8:9], v[15:16], v[17:18]
	v_fma_f64 v[4:5], -v[8:9], v[15:16], v[4:5]
	ds_store_b128 v131, v[0:3]
	ds_store_b128 v10, v[4:7] offset:3328
	s_and_saveexec_b32 s1, s0
	s_cbranch_execz .LBB0_23
; %bb.22:
	v_mov_b32_e32 v61, v62
	v_lshl_add_u32 v17, v60, 4, v130
	s_delay_alu instid0(VALU_DEP_2) | instskip(NEXT) | instid1(VALU_DEP_1)
	v_lshlrev_b64_e32 v[0:1], 4, v[60:61]
	v_add_co_u32 v0, s0, s4, v0
	s_wait_alu 0xf1ff
	s_delay_alu instid0(VALU_DEP_2)
	v_add_co_ci_u32_e64 v1, s0, s5, v1, s0
	global_load_b128 v[0:3], v[0:1], off offset:5200
	ds_load_b128 v[4:7], v17
	ds_load_b128 v[11:14], v10 offset:2912
	s_wait_dscnt 0x0
	v_add_f64_e64 v[8:9], v[4:5], -v[11:12]
	v_add_f64_e32 v[15:16], v[6:7], v[13:14]
	v_add_f64_e64 v[6:7], v[6:7], -v[13:14]
	v_add_f64_e32 v[4:5], v[4:5], v[11:12]
	s_delay_alu instid0(VALU_DEP_4) | instskip(NEXT) | instid1(VALU_DEP_4)
	v_mul_f64_e32 v[8:9], 0.5, v[8:9]
	v_mul_f64_e32 v[13:14], 0.5, v[15:16]
	s_delay_alu instid0(VALU_DEP_4) | instskip(SKIP_1) | instid1(VALU_DEP_3)
	v_mul_f64_e32 v[6:7], 0.5, v[6:7]
	s_wait_loadcnt 0x0
	v_mul_f64_e32 v[11:12], v[8:9], v[2:3]
	s_delay_alu instid0(VALU_DEP_2) | instskip(SKIP_1) | instid1(VALU_DEP_3)
	v_fma_f64 v[15:16], v[13:14], v[2:3], v[6:7]
	v_fma_f64 v[2:3], v[13:14], v[2:3], -v[6:7]
	v_fma_f64 v[6:7], v[4:5], 0.5, v[11:12]
	v_fma_f64 v[11:12], v[4:5], 0.5, -v[11:12]
	s_delay_alu instid0(VALU_DEP_4) | instskip(NEXT) | instid1(VALU_DEP_4)
	v_fma_f64 v[4:5], -v[0:1], v[8:9], v[15:16]
	v_fma_f64 v[8:9], -v[0:1], v[8:9], v[2:3]
	s_delay_alu instid0(VALU_DEP_4) | instskip(NEXT) | instid1(VALU_DEP_4)
	v_fma_f64 v[2:3], v[13:14], v[0:1], v[6:7]
	v_fma_f64 v[6:7], -v[13:14], v[0:1], v[11:12]
	ds_store_b128 v17, v[2:5]
	ds_store_b128 v10, v[6:9] offset:2912
.LBB0_23:
	s_wait_alu 0xfffe
	s_or_b32 exec_lo, exec_lo, s1
	global_wb scope:SCOPE_SE
	s_wait_dscnt 0x0
	s_barrier_signal -1
	s_barrier_wait -1
	global_inv scope:SCOPE_SE
	s_and_saveexec_b32 s0, vcc_lo
	s_cbranch_execz .LBB0_26
; %bb.24:
	ds_load_b128 v[2:5], v129
	ds_load_b128 v[6:9], v129 offset:416
	ds_load_b128 v[10:13], v129 offset:832
	;; [unrolled: 1-line block ×12, first 2 shown]
	v_mov_b32_e32 v57, 0
	v_add_co_u32 v0, vcc_lo, s8, v58
	s_wait_alu 0xfffd
	v_add_co_ci_u32_e32 v1, vcc_lo, s9, v59, vcc_lo
	s_delay_alu instid0(VALU_DEP_3) | instskip(NEXT) | instid1(VALU_DEP_1)
	v_lshlrev_b64_e32 v[54:55], 4, v[56:57]
	v_add_co_u32 v54, vcc_lo, v0, v54
	s_wait_alu 0xfffd
	s_delay_alu instid0(VALU_DEP_2)
	v_add_co_ci_u32_e32 v55, vcc_lo, v1, v55, vcc_lo
	v_cmp_eq_u32_e32 vcc_lo, 25, v56
	s_wait_dscnt 0xc
	global_store_b128 v[54:55], v[2:5], off
	s_wait_dscnt 0xb
	global_store_b128 v[54:55], v[6:9], off offset:416
	s_wait_dscnt 0xa
	global_store_b128 v[54:55], v[10:13], off offset:832
	;; [unrolled: 2-line block ×12, first 2 shown]
	s_and_b32 exec_lo, exec_lo, vcc_lo
	s_cbranch_execz .LBB0_26
; %bb.25:
	ds_load_b128 v[2:5], v129 offset:5008
	s_wait_dscnt 0x0
	global_store_b128 v[0:1], v[2:5], off offset:5408
.LBB0_26:
	s_nop 0
	s_sendmsg sendmsg(MSG_DEALLOC_VGPRS)
	s_endpgm
	.section	.rodata,"a",@progbits
	.p2align	6, 0x0
	.amdhsa_kernel fft_rtc_fwd_len338_factors_13_2_13_wgs_52_tpt_26_halfLds_dp_ip_CI_unitstride_sbrr_R2C_dirReg
		.amdhsa_group_segment_fixed_size 0
		.amdhsa_private_segment_fixed_size 0
		.amdhsa_kernarg_size 88
		.amdhsa_user_sgpr_count 2
		.amdhsa_user_sgpr_dispatch_ptr 0
		.amdhsa_user_sgpr_queue_ptr 0
		.amdhsa_user_sgpr_kernarg_segment_ptr 1
		.amdhsa_user_sgpr_dispatch_id 0
		.amdhsa_user_sgpr_private_segment_size 0
		.amdhsa_wavefront_size32 1
		.amdhsa_uses_dynamic_stack 0
		.amdhsa_enable_private_segment 0
		.amdhsa_system_sgpr_workgroup_id_x 1
		.amdhsa_system_sgpr_workgroup_id_y 0
		.amdhsa_system_sgpr_workgroup_id_z 0
		.amdhsa_system_sgpr_workgroup_info 0
		.amdhsa_system_vgpr_workitem_id 0
		.amdhsa_next_free_vgpr 256
		.amdhsa_next_free_sgpr 40
		.amdhsa_reserve_vcc 1
		.amdhsa_float_round_mode_32 0
		.amdhsa_float_round_mode_16_64 0
		.amdhsa_float_denorm_mode_32 3
		.amdhsa_float_denorm_mode_16_64 3
		.amdhsa_fp16_overflow 0
		.amdhsa_workgroup_processor_mode 1
		.amdhsa_memory_ordered 1
		.amdhsa_forward_progress 0
		.amdhsa_round_robin_scheduling 0
		.amdhsa_exception_fp_ieee_invalid_op 0
		.amdhsa_exception_fp_denorm_src 0
		.amdhsa_exception_fp_ieee_div_zero 0
		.amdhsa_exception_fp_ieee_overflow 0
		.amdhsa_exception_fp_ieee_underflow 0
		.amdhsa_exception_fp_ieee_inexact 0
		.amdhsa_exception_int_div_zero 0
	.end_amdhsa_kernel
	.text
.Lfunc_end0:
	.size	fft_rtc_fwd_len338_factors_13_2_13_wgs_52_tpt_26_halfLds_dp_ip_CI_unitstride_sbrr_R2C_dirReg, .Lfunc_end0-fft_rtc_fwd_len338_factors_13_2_13_wgs_52_tpt_26_halfLds_dp_ip_CI_unitstride_sbrr_R2C_dirReg
                                        ; -- End function
	.section	.AMDGPU.csdata,"",@progbits
; Kernel info:
; codeLenInByte = 11912
; NumSgprs: 42
; NumVgprs: 256
; ScratchSize: 0
; MemoryBound: 0
; FloatMode: 240
; IeeeMode: 1
; LDSByteSize: 0 bytes/workgroup (compile time only)
; SGPRBlocks: 5
; VGPRBlocks: 31
; NumSGPRsForWavesPerEU: 42
; NumVGPRsForWavesPerEU: 256
; Occupancy: 5
; WaveLimiterHint : 1
; COMPUTE_PGM_RSRC2:SCRATCH_EN: 0
; COMPUTE_PGM_RSRC2:USER_SGPR: 2
; COMPUTE_PGM_RSRC2:TRAP_HANDLER: 0
; COMPUTE_PGM_RSRC2:TGID_X_EN: 1
; COMPUTE_PGM_RSRC2:TGID_Y_EN: 0
; COMPUTE_PGM_RSRC2:TGID_Z_EN: 0
; COMPUTE_PGM_RSRC2:TIDIG_COMP_CNT: 0
	.text
	.p2alignl 7, 3214868480
	.fill 96, 4, 3214868480
	.type	__hip_cuid_dcc6f6f3cc1a7e80,@object ; @__hip_cuid_dcc6f6f3cc1a7e80
	.section	.bss,"aw",@nobits
	.globl	__hip_cuid_dcc6f6f3cc1a7e80
__hip_cuid_dcc6f6f3cc1a7e80:
	.byte	0                               ; 0x0
	.size	__hip_cuid_dcc6f6f3cc1a7e80, 1

	.ident	"AMD clang version 19.0.0git (https://github.com/RadeonOpenCompute/llvm-project roc-6.4.0 25133 c7fe45cf4b819c5991fe208aaa96edf142730f1d)"
	.section	".note.GNU-stack","",@progbits
	.addrsig
	.addrsig_sym __hip_cuid_dcc6f6f3cc1a7e80
	.amdgpu_metadata
---
amdhsa.kernels:
  - .args:
      - .actual_access:  read_only
        .address_space:  global
        .offset:         0
        .size:           8
        .value_kind:     global_buffer
      - .offset:         8
        .size:           8
        .value_kind:     by_value
      - .actual_access:  read_only
        .address_space:  global
        .offset:         16
        .size:           8
        .value_kind:     global_buffer
      - .actual_access:  read_only
        .address_space:  global
        .offset:         24
        .size:           8
        .value_kind:     global_buffer
      - .offset:         32
        .size:           8
        .value_kind:     by_value
      - .actual_access:  read_only
        .address_space:  global
        .offset:         40
        .size:           8
        .value_kind:     global_buffer
      - .actual_access:  read_only
        .address_space:  global
        .offset:         48
        .size:           8
        .value_kind:     global_buffer
      - .offset:         56
        .size:           4
        .value_kind:     by_value
      - .actual_access:  read_only
        .address_space:  global
        .offset:         64
        .size:           8
        .value_kind:     global_buffer
      - .actual_access:  read_only
        .address_space:  global
        .offset:         72
        .size:           8
        .value_kind:     global_buffer
      - .address_space:  global
        .offset:         80
        .size:           8
        .value_kind:     global_buffer
    .group_segment_fixed_size: 0
    .kernarg_segment_align: 8
    .kernarg_segment_size: 88
    .language:       OpenCL C
    .language_version:
      - 2
      - 0
    .max_flat_workgroup_size: 52
    .name:           fft_rtc_fwd_len338_factors_13_2_13_wgs_52_tpt_26_halfLds_dp_ip_CI_unitstride_sbrr_R2C_dirReg
    .private_segment_fixed_size: 0
    .sgpr_count:     42
    .sgpr_spill_count: 0
    .symbol:         fft_rtc_fwd_len338_factors_13_2_13_wgs_52_tpt_26_halfLds_dp_ip_CI_unitstride_sbrr_R2C_dirReg.kd
    .uniform_work_group_size: 1
    .uses_dynamic_stack: false
    .vgpr_count:     256
    .vgpr_spill_count: 0
    .wavefront_size: 32
    .workgroup_processor_mode: 1
amdhsa.target:   amdgcn-amd-amdhsa--gfx1201
amdhsa.version:
  - 1
  - 2
...

	.end_amdgpu_metadata
